;; amdgpu-corpus repo=ROCm/rocSOLVER kind=compiled arch=gfx1250 opt=O3
	.amdgcn_target "amdgcn-amd-amdhsa--gfx1250"
	.amdhsa_code_object_version 6
	.section	.text._ZN9rocsolver6v33100L22larf_left_kernel_smallILi64EdiPdEEvT1_S3_T2_lS3_lPKT0_lS4_lS3_l,"axG",@progbits,_ZN9rocsolver6v33100L22larf_left_kernel_smallILi64EdiPdEEvT1_S3_T2_lS3_lPKT0_lS4_lS3_l,comdat
	.globl	_ZN9rocsolver6v33100L22larf_left_kernel_smallILi64EdiPdEEvT1_S3_T2_lS3_lPKT0_lS4_lS3_l ; -- Begin function _ZN9rocsolver6v33100L22larf_left_kernel_smallILi64EdiPdEEvT1_S3_T2_lS3_lPKT0_lS4_lS3_l
	.p2align	8
	.type	_ZN9rocsolver6v33100L22larf_left_kernel_smallILi64EdiPdEEvT1_S3_T2_lS3_lPKT0_lS4_lS3_l,@function
_ZN9rocsolver6v33100L22larf_left_kernel_smallILi64EdiPdEEvT1_S3_T2_lS3_lPKT0_lS4_lS3_l: ; @_ZN9rocsolver6v33100L22larf_left_kernel_smallILi64EdiPdEEvT1_S3_T2_lS3_lPKT0_lS4_lS3_l
; %bb.0:
	s_clause 0x2
	s_load_b64 s[12:13], s[0:1], 0x0
	s_load_b256 s[4:11], s[0:1], 0x20
	s_load_b64 s[14:15], s[0:1], 0x40
	s_bfe_u32 s2, ttmp6, 0x4000c
	s_and_b32 s16, ttmp6, 15
	s_add_co_i32 s2, s2, 1
	s_getreg_b32 s3, hwreg(HW_REG_IB_STS2, 6, 4)
	s_mul_i32 s2, ttmp9, s2
	v_lshlrev_b32_e32 v2, 3, v0
	s_add_co_i32 s16, s16, s2
	s_cmp_eq_u32 s3, 0
	s_mov_b32 s18, 0
	s_cselect_b32 s16, ttmp9, s16
	s_delay_alu instid0(SALU_CYCLE_1)
	s_ashr_i32 s17, s16, 31
	s_wait_kmcnt 0x0
	v_cmp_gt_i32_e64 s2, s12, v0
	s_and_saveexec_b32 s19, s2
	s_cbranch_execz .LBB0_3
; %bb.1:
	s_clause 0x1
	s_load_b128 s[20:23], s[0:1], 0x8
	s_load_b32 s24, s[0:1], 0x18
	s_mul_u64 s[4:5], s[4:5], s[16:17]
	s_sub_co_i32 s25, 1, s12
	s_lshl_b64 s[4:5], s[4:5], 3
	v_dual_mov_b32 v4, v0 :: v_dual_lshlrev_b32 v3, 3, v0
	s_wait_kmcnt 0x0
	s_lshl_b64 s[22:23], s[22:23], 3
	s_mul_i32 s25, s24, s25
	s_cmp_lt_i32 s24, 1
	s_add_nc_u64 s[4:5], s[20:21], s[4:5]
	s_cselect_b32 s25, s25, 0
	s_add_nc_u64 s[4:5], s[4:5], s[22:23]
	v_mad_u32 v1, v0, s24, s25
	s_lshl_b32 s20, s24, 6
.LBB0_2:                                ; =>This Inner Loop Header: Depth=1
	global_load_b64 v[6:7], v1, s[4:5] scale_offset
	s_wait_xcnt 0x0
	v_dual_add_nc_u32 v4, 64, v4 :: v_dual_add_nc_u32 v1, s20, v1
	s_delay_alu instid0(VALU_DEP_1)
	v_cmp_le_i32_e32 vcc_lo, s12, v4
	s_or_b32 s18, vcc_lo, s18
	s_wait_loadcnt 0x0
	ds_store_b64 v3, v[6:7]
	v_add_nc_u32_e32 v3, 0x200, v3
	s_and_not1_b32 exec_lo, exec_lo, s18
	s_cbranch_execnz .LBB0_2
.LBB0_3:
	s_or_b32 exec_lo, exec_lo, s19
	s_bfe_u32 s4, ttmp6, 0x40010
	s_bfe_u32 s5, ttmp6, 0x40004
	s_add_co_i32 s4, s4, 1
	s_wait_dscnt 0x0
	s_mul_i32 s4, ttmp7, s4
	s_barrier_signal -1
	s_add_co_i32 s5, s5, s4
	s_cmp_eq_u32 s3, 0
	s_barrier_wait -1
	s_cselect_b32 s3, ttmp7, s5
	s_delay_alu instid0(SALU_CYCLE_1)
	s_cmp_ge_i32 s3, s13
	s_cbranch_scc1 .LBB0_23
; %bb.4:
	s_clause 0x1
	s_load_b64 s[4:5], s[0:1], 0x50
	s_load_b32 s20, s[0:1], 0x48
	s_wait_xcnt 0x0
	s_mul_u64 s[0:1], s[8:9], s[16:17]
	v_dual_mov_b32 v3, 0 :: v_dual_bitop2_b32 v1, 31, v0 bitop3:0x40
	s_lshl_b64 s[18:19], s[0:1], 3
	s_cmp_gt_i32 s12, 1
	v_lshrrev_b32_e32 v14, 2, v0
	s_cselect_b32 s8, -1, 0
	s_lshl_b64 s[14:15], s[14:15], 3
	v_cmp_eq_u32_e64 s0, 0, v1
	v_mbcnt_lo_u32_b32 v1, -1, 0
	v_cmp_eq_u32_e64 s1, 0, v0
	s_delay_alu instid0(VALU_DEP_2) | instskip(SKIP_4) | instid1(SALU_CYCLE_1)
	v_lshl_or_b32 v15, v1, 2, 64
	s_wait_kmcnt 0x0
	s_mul_u64 s[4:5], s[4:5], s[16:17]
	s_lshl_b32 s9, s20, 6
	s_lshl_b64 s[4:5], s[4:5], 3
	s_add_nc_u64 s[4:5], s[4:5], s[14:15]
	s_delay_alu instid0(SALU_CYCLE_1) | instskip(NEXT) | instid1(SALU_CYCLE_1)
	s_add_nc_u64 s[4:5], s[10:11], s[4:5]
	v_add_nc_u64_e32 v[4:5], s[4:5], v[2:3]
	s_add_nc_u64 s[4:5], s[6:7], s[18:19]
	s_mul_i32 s6, s3, s20
	s_branch .LBB0_6
.LBB0_5:                                ;   in Loop: Header=BB0_6 Depth=1
	s_or_b32 exec_lo, exec_lo, s7
	s_add_co_i32 s3, s3, 64
	s_add_co_i32 s6, s6, s9
	s_cmp_ge_i32 s3, s13
	s_cbranch_scc1 .LBB0_23
.LBB0_6:                                ; =>This Loop Header: Depth=1
                                        ;     Child Loop BB0_8 Depth 2
                                        ;     Child Loop BB0_22 Depth 2
	s_ashr_i32 s7, s6, 31
	v_mov_b64_e32 v[8:9], 0
	s_delay_alu instid0(VALU_DEP_2)
	v_lshl_add_u64 v[6:7], s[6:7], 3, v[4:5]
	s_and_saveexec_b32 s7, s2
	s_cbranch_execz .LBB0_10
; %bb.7:                                ;   in Loop: Header=BB0_6 Depth=1
	v_mov_b64_e32 v[8:9], 0
	s_delay_alu instid0(VALU_DEP_2)
	v_mov_b64_e32 v[10:11], v[6:7]
	v_dual_mov_b32 v12, v2 :: v_dual_mov_b32 v13, v0
	s_mov_b32 s10, 0
.LBB0_8:                                ;   Parent Loop BB0_6 Depth=1
                                        ; =>  This Inner Loop Header: Depth=2
	global_load_b64 v[16:17], v[10:11], off
	ds_load_b64 v[18:19], v12
	v_add_nc_u32_e32 v13, 64, v13
	s_wait_xcnt 0x0
	v_add_nc_u64_e32 v[10:11], 0x200, v[10:11]
	v_add_nc_u32_e32 v12, 0x200, v12
	s_delay_alu instid0(VALU_DEP_3)
	v_cmp_le_i32_e32 vcc_lo, s12, v13
	s_or_b32 s10, vcc_lo, s10
	s_wait_loadcnt_dscnt 0x0
	v_fmac_f64_e32 v[8:9], v[18:19], v[16:17]
	s_and_not1_b32 exec_lo, exec_lo, s10
	s_cbranch_execnz .LBB0_8
; %bb.9:                                ;   in Loop: Header=BB0_6 Depth=1
	s_or_b32 exec_lo, exec_lo, s10
.LBB0_10:                               ;   in Loop: Header=BB0_6 Depth=1
	s_delay_alu instid0(SALU_CYCLE_1) | instskip(NEXT) | instid1(SALU_CYCLE_1)
	s_or_b32 exec_lo, exec_lo, s7
	s_and_b32 vcc_lo, exec_lo, s8
	s_cbranch_vccz .LBB0_17
; %bb.11:                               ;   in Loop: Header=BB0_6 Depth=1
	v_cmp_ne_u32_e32 vcc_lo, 31, v1
	v_add_co_ci_u32_e64 v10, null, 0, v1, vcc_lo
	v_cmp_gt_u32_e32 vcc_lo, 30, v1
	s_delay_alu instid0(VALU_DEP_2)
	v_lshlrev_b32_e32 v11, 2, v10
	v_cndmask_b32_e64 v12, 0, 2, vcc_lo
	v_cmp_gt_u32_e32 vcc_lo, 28, v1
	ds_bpermute_b32 v10, v11, v8
	ds_bpermute_b32 v11, v11, v9
	v_add_lshl_u32 v13, v12, v1, 2
	s_wait_dscnt 0x0
	v_add_f64_e32 v[10:11], v[8:9], v[10:11]
	ds_bpermute_b32 v12, v13, v10
	ds_bpermute_b32 v13, v13, v11
	s_wait_dscnt 0x0
	v_add_f64_e32 v[10:11], v[10:11], v[12:13]
	v_cndmask_b32_e64 v12, 0, 4, vcc_lo
	v_cmp_gt_u32_e32 vcc_lo, 24, v1
	s_delay_alu instid0(VALU_DEP_2)
	v_add_lshl_u32 v13, v12, v1, 2
	ds_bpermute_b32 v12, v13, v10
	ds_bpermute_b32 v13, v13, v11
	s_wait_dscnt 0x0
	v_add_f64_e32 v[10:11], v[10:11], v[12:13]
	v_cndmask_b32_e64 v12, 0, 8, vcc_lo
	s_delay_alu instid0(VALU_DEP_1)
	v_add_lshl_u32 v13, v12, v1, 2
	ds_bpermute_b32 v12, v13, v10
	ds_bpermute_b32 v13, v13, v11
	s_wait_dscnt 0x0
	v_add_f64_e32 v[10:11], v[10:11], v[12:13]
	ds_bpermute_b32 v12, v15, v10
	ds_bpermute_b32 v13, v15, v11
	s_wait_dscnt 0x0
	v_add_f64_e32 v[12:13], v[10:11], v[12:13]
	s_and_saveexec_b32 s7, s0
; %bb.12:                               ;   in Loop: Header=BB0_6 Depth=1
	ds_store_b64 v14, v[12:13] offset:16384
; %bb.13:                               ;   in Loop: Header=BB0_6 Depth=1
	s_or_b32 exec_lo, exec_lo, s7
	s_mov_b32 s10, 0
	s_mov_b32 s7, 0
	s_wait_dscnt 0x0
	s_barrier_signal -1
	s_barrier_wait -1
                                        ; implicit-def: $vgpr10_vgpr11
	s_and_saveexec_b32 s11, s1
	s_delay_alu instid0(SALU_CYCLE_1)
	s_xor_b32 s11, exec_lo, s11
	s_cbranch_execz .LBB0_15
; %bb.14:                               ;   in Loop: Header=BB0_6 Depth=1
	ds_load_b64 v[10:11], v3 offset:16392
	s_mov_b32 s7, exec_lo
	s_wait_dscnt 0x0
	v_add_f64_e32 v[10:11], v[12:13], v[10:11]
.LBB0_15:                               ;   in Loop: Header=BB0_6 Depth=1
	s_or_b32 exec_lo, exec_lo, s11
	s_delay_alu instid0(SALU_CYCLE_1)
	s_and_b32 vcc_lo, exec_lo, s10
	s_cbranch_vccnz .LBB0_18
.LBB0_16:                               ;   in Loop: Header=BB0_6 Depth=1
	s_delay_alu instid0(VALU_DEP_1)
	v_mov_b64_e32 v[8:9], v[10:11]
	s_and_saveexec_b32 s10, s7
	s_cbranch_execnz .LBB0_19
	s_branch .LBB0_20
.LBB0_17:                               ;   in Loop: Header=BB0_6 Depth=1
	s_mov_b32 s7, 0
                                        ; implicit-def: $vgpr10_vgpr11
	s_cbranch_execz .LBB0_16
.LBB0_18:                               ;   in Loop: Header=BB0_6 Depth=1
	s_and_not1_b32 s7, s7, exec_lo
	s_and_b32 s10, s1, exec_lo
	s_delay_alu instid0(SALU_CYCLE_1) | instskip(NEXT) | instid1(SALU_CYCLE_1)
	s_or_b32 s7, s7, s10
	s_and_saveexec_b32 s10, s7
.LBB0_19:                               ;   in Loop: Header=BB0_6 Depth=1
	ds_store_b64 v3, v[8:9] offset:16384
.LBB0_20:                               ;   in Loop: Header=BB0_6 Depth=1
	s_or_b32 exec_lo, exec_lo, s10
	s_wait_dscnt 0x0
	s_barrier_signal -1
	s_barrier_wait -1
	s_and_saveexec_b32 s7, s2
	s_cbranch_execz .LBB0_5
; %bb.21:                               ;   in Loop: Header=BB0_6 Depth=1
	global_load_b64 v[8:9], v3, s[4:5]
	ds_load_b64 v[10:11], v3 offset:16384
	s_mov_b32 s10, 0
	s_wait_loadcnt_dscnt 0x0
	v_dual_mul_f64 v[8:9], v[10:11], -v[8:9] :: v_dual_mov_b32 v11, v0
	v_mov_b32_e32 v10, v2
.LBB0_22:                               ;   Parent Loop BB0_6 Depth=1
                                        ; =>  This Inner Loop Header: Depth=2
	global_load_b64 v[12:13], v[6:7], off
	ds_load_b64 v[16:17], v10
	v_add_nc_u32_e32 v11, 64, v11
	v_add_nc_u32_e32 v10, 0x200, v10
	s_delay_alu instid0(VALU_DEP_2)
	v_cmp_le_i32_e32 vcc_lo, s12, v11
	s_or_b32 s10, vcc_lo, s10
	s_wait_loadcnt_dscnt 0x0
	v_fmac_f64_e32 v[12:13], v[8:9], v[16:17]
	global_store_b64 v[6:7], v[12:13], off
	s_wait_xcnt 0x0
	v_add_nc_u64_e32 v[6:7], 0x200, v[6:7]
	s_and_not1_b32 exec_lo, exec_lo, s10
	s_cbranch_execnz .LBB0_22
	s_branch .LBB0_5
.LBB0_23:
	s_endpgm
	.section	.rodata,"a",@progbits
	.p2align	6, 0x0
	.amdhsa_kernel _ZN9rocsolver6v33100L22larf_left_kernel_smallILi64EdiPdEEvT1_S3_T2_lS3_lPKT0_lS4_lS3_l
		.amdhsa_group_segment_fixed_size 16896
		.amdhsa_private_segment_fixed_size 0
		.amdhsa_kernarg_size 88
		.amdhsa_user_sgpr_count 2
		.amdhsa_user_sgpr_dispatch_ptr 0
		.amdhsa_user_sgpr_queue_ptr 0
		.amdhsa_user_sgpr_kernarg_segment_ptr 1
		.amdhsa_user_sgpr_dispatch_id 0
		.amdhsa_user_sgpr_kernarg_preload_length 0
		.amdhsa_user_sgpr_kernarg_preload_offset 0
		.amdhsa_user_sgpr_private_segment_size 0
		.amdhsa_wavefront_size32 1
		.amdhsa_uses_dynamic_stack 0
		.amdhsa_enable_private_segment 0
		.amdhsa_system_sgpr_workgroup_id_x 1
		.amdhsa_system_sgpr_workgroup_id_y 1
		.amdhsa_system_sgpr_workgroup_id_z 0
		.amdhsa_system_sgpr_workgroup_info 0
		.amdhsa_system_vgpr_workitem_id 0
		.amdhsa_next_free_vgpr 113
		.amdhsa_next_free_sgpr 26
		.amdhsa_named_barrier_count 0
		.amdhsa_reserve_vcc 1
		.amdhsa_float_round_mode_32 0
		.amdhsa_float_round_mode_16_64 0
		.amdhsa_float_denorm_mode_32 3
		.amdhsa_float_denorm_mode_16_64 3
		.amdhsa_fp16_overflow 0
		.amdhsa_memory_ordered 1
		.amdhsa_forward_progress 1
		.amdhsa_inst_pref_size 9
		.amdhsa_round_robin_scheduling 0
		.amdhsa_exception_fp_ieee_invalid_op 0
		.amdhsa_exception_fp_denorm_src 0
		.amdhsa_exception_fp_ieee_div_zero 0
		.amdhsa_exception_fp_ieee_overflow 0
		.amdhsa_exception_fp_ieee_underflow 0
		.amdhsa_exception_fp_ieee_inexact 0
		.amdhsa_exception_int_div_zero 0
	.end_amdhsa_kernel
	.section	.text._ZN9rocsolver6v33100L22larf_left_kernel_smallILi64EdiPdEEvT1_S3_T2_lS3_lPKT0_lS4_lS3_l,"axG",@progbits,_ZN9rocsolver6v33100L22larf_left_kernel_smallILi64EdiPdEEvT1_S3_T2_lS3_lPKT0_lS4_lS3_l,comdat
.Lfunc_end0:
	.size	_ZN9rocsolver6v33100L22larf_left_kernel_smallILi64EdiPdEEvT1_S3_T2_lS3_lPKT0_lS4_lS3_l, .Lfunc_end0-_ZN9rocsolver6v33100L22larf_left_kernel_smallILi64EdiPdEEvT1_S3_T2_lS3_lPKT0_lS4_lS3_l
                                        ; -- End function
	.set _ZN9rocsolver6v33100L22larf_left_kernel_smallILi64EdiPdEEvT1_S3_T2_lS3_lPKT0_lS4_lS3_l.num_vgpr, 20
	.set _ZN9rocsolver6v33100L22larf_left_kernel_smallILi64EdiPdEEvT1_S3_T2_lS3_lPKT0_lS4_lS3_l.num_agpr, 0
	.set _ZN9rocsolver6v33100L22larf_left_kernel_smallILi64EdiPdEEvT1_S3_T2_lS3_lPKT0_lS4_lS3_l.numbered_sgpr, 26
	.set _ZN9rocsolver6v33100L22larf_left_kernel_smallILi64EdiPdEEvT1_S3_T2_lS3_lPKT0_lS4_lS3_l.num_named_barrier, 0
	.set _ZN9rocsolver6v33100L22larf_left_kernel_smallILi64EdiPdEEvT1_S3_T2_lS3_lPKT0_lS4_lS3_l.private_seg_size, 0
	.set _ZN9rocsolver6v33100L22larf_left_kernel_smallILi64EdiPdEEvT1_S3_T2_lS3_lPKT0_lS4_lS3_l.uses_vcc, 1
	.set _ZN9rocsolver6v33100L22larf_left_kernel_smallILi64EdiPdEEvT1_S3_T2_lS3_lPKT0_lS4_lS3_l.uses_flat_scratch, 0
	.set _ZN9rocsolver6v33100L22larf_left_kernel_smallILi64EdiPdEEvT1_S3_T2_lS3_lPKT0_lS4_lS3_l.has_dyn_sized_stack, 0
	.set _ZN9rocsolver6v33100L22larf_left_kernel_smallILi64EdiPdEEvT1_S3_T2_lS3_lPKT0_lS4_lS3_l.has_recursion, 0
	.set _ZN9rocsolver6v33100L22larf_left_kernel_smallILi64EdiPdEEvT1_S3_T2_lS3_lPKT0_lS4_lS3_l.has_indirect_call, 0
	.section	.AMDGPU.csdata,"",@progbits
; Kernel info:
; codeLenInByte = 1128
; TotalNumSgprs: 28
; NumVgprs: 20
; ScratchSize: 0
; MemoryBound: 0
; FloatMode: 240
; IeeeMode: 1
; LDSByteSize: 16896 bytes/workgroup (compile time only)
; SGPRBlocks: 0
; VGPRBlocks: 7
; NumSGPRsForWavesPerEU: 28
; NumVGPRsForWavesPerEU: 113
; NamedBarCnt: 0
; Occupancy: 8
; WaveLimiterHint : 0
; COMPUTE_PGM_RSRC2:SCRATCH_EN: 0
; COMPUTE_PGM_RSRC2:USER_SGPR: 2
; COMPUTE_PGM_RSRC2:TRAP_HANDLER: 0
; COMPUTE_PGM_RSRC2:TGID_X_EN: 1
; COMPUTE_PGM_RSRC2:TGID_Y_EN: 1
; COMPUTE_PGM_RSRC2:TGID_Z_EN: 0
; COMPUTE_PGM_RSRC2:TIDIG_COMP_CNT: 0
	.section	.text._ZN9rocsolver6v33100L22larf_left_kernel_smallILi128EdiPdEEvT1_S3_T2_lS3_lPKT0_lS4_lS3_l,"axG",@progbits,_ZN9rocsolver6v33100L22larf_left_kernel_smallILi128EdiPdEEvT1_S3_T2_lS3_lPKT0_lS4_lS3_l,comdat
	.globl	_ZN9rocsolver6v33100L22larf_left_kernel_smallILi128EdiPdEEvT1_S3_T2_lS3_lPKT0_lS4_lS3_l ; -- Begin function _ZN9rocsolver6v33100L22larf_left_kernel_smallILi128EdiPdEEvT1_S3_T2_lS3_lPKT0_lS4_lS3_l
	.p2align	8
	.type	_ZN9rocsolver6v33100L22larf_left_kernel_smallILi128EdiPdEEvT1_S3_T2_lS3_lPKT0_lS4_lS3_l,@function
_ZN9rocsolver6v33100L22larf_left_kernel_smallILi128EdiPdEEvT1_S3_T2_lS3_lPKT0_lS4_lS3_l: ; @_ZN9rocsolver6v33100L22larf_left_kernel_smallILi128EdiPdEEvT1_S3_T2_lS3_lPKT0_lS4_lS3_l
; %bb.0:
	s_clause 0x2
	s_load_b64 s[12:13], s[0:1], 0x0
	s_load_b256 s[4:11], s[0:1], 0x20
	s_load_b64 s[14:15], s[0:1], 0x40
	s_bfe_u32 s2, ttmp6, 0x4000c
	s_and_b32 s16, ttmp6, 15
	s_add_co_i32 s2, s2, 1
	s_getreg_b32 s3, hwreg(HW_REG_IB_STS2, 6, 4)
	s_mul_i32 s2, ttmp9, s2
	v_lshlrev_b32_e32 v2, 3, v0
	s_add_co_i32 s16, s16, s2
	s_cmp_eq_u32 s3, 0
	s_mov_b32 s18, 0
	s_cselect_b32 s16, ttmp9, s16
	s_delay_alu instid0(SALU_CYCLE_1)
	s_ashr_i32 s17, s16, 31
	s_wait_kmcnt 0x0
	v_cmp_gt_i32_e64 s2, s12, v0
	s_and_saveexec_b32 s19, s2
	s_cbranch_execz .LBB1_3
; %bb.1:
	s_clause 0x1
	s_load_b128 s[20:23], s[0:1], 0x8
	s_load_b32 s24, s[0:1], 0x18
	s_mul_u64 s[4:5], s[4:5], s[16:17]
	s_sub_co_i32 s25, 1, s12
	s_lshl_b64 s[4:5], s[4:5], 3
	v_dual_mov_b32 v4, v0 :: v_dual_lshlrev_b32 v3, 3, v0
	s_wait_kmcnt 0x0
	s_lshl_b64 s[22:23], s[22:23], 3
	s_mul_i32 s25, s24, s25
	s_cmp_lt_i32 s24, 1
	s_add_nc_u64 s[4:5], s[20:21], s[4:5]
	s_cselect_b32 s25, s25, 0
	s_add_nc_u64 s[4:5], s[4:5], s[22:23]
	v_mad_u32 v1, v0, s24, s25
	s_lshl_b32 s20, s24, 7
.LBB1_2:                                ; =>This Inner Loop Header: Depth=1
	global_load_b64 v[6:7], v1, s[4:5] scale_offset
	v_add_nc_u32_e32 v4, 0x80, v4
	s_wait_xcnt 0x0
	v_add_nc_u32_e32 v1, s20, v1
	s_delay_alu instid0(VALU_DEP_2)
	v_cmp_le_i32_e32 vcc_lo, s12, v4
	s_or_b32 s18, vcc_lo, s18
	s_wait_loadcnt 0x0
	ds_store_b64 v3, v[6:7]
	v_add_nc_u32_e32 v3, 0x400, v3
	s_and_not1_b32 exec_lo, exec_lo, s18
	s_cbranch_execnz .LBB1_2
.LBB1_3:
	s_or_b32 exec_lo, exec_lo, s19
	s_bfe_u32 s4, ttmp6, 0x40010
	s_bfe_u32 s5, ttmp6, 0x40004
	s_add_co_i32 s4, s4, 1
	s_wait_dscnt 0x0
	s_mul_i32 s4, ttmp7, s4
	s_barrier_signal -1
	s_add_co_i32 s5, s5, s4
	s_cmp_eq_u32 s3, 0
	s_barrier_wait -1
	s_cselect_b32 s3, ttmp7, s5
	s_delay_alu instid0(SALU_CYCLE_1)
	s_cmp_ge_i32 s3, s13
	s_cbranch_scc1 .LBB1_23
; %bb.4:
	s_clause 0x1
	s_load_b64 s[4:5], s[0:1], 0x50
	s_load_b32 s20, s[0:1], 0x48
	s_wait_xcnt 0x0
	s_mul_u64 s[0:1], s[8:9], s[16:17]
	v_dual_mov_b32 v3, 0 :: v_dual_bitop2_b32 v1, 31, v0 bitop3:0x40
	s_lshl_b64 s[18:19], s[0:1], 3
	s_cmp_gt_i32 s12, 1
	v_lshrrev_b32_e32 v14, 2, v0
	s_cselect_b32 s8, -1, 0
	v_mov_b32_e32 v16, 0x4008
	s_wait_kmcnt 0x0
	s_mul_u64 s[0:1], s[4:5], s[16:17]
	s_lshl_b64 s[4:5], s[14:15], 3
	s_lshl_b64 s[14:15], s[0:1], 3
	v_cmp_eq_u32_e64 s0, 0, v1
	s_add_nc_u64 s[4:5], s[14:15], s[4:5]
	v_mbcnt_lo_u32_b32 v1, -1, 0
	s_add_nc_u64 s[4:5], s[10:11], s[4:5]
	v_cmp_eq_u32_e64 s1, 0, v0
	v_add_nc_u64_e32 v[4:5], s[4:5], v[2:3]
	s_add_nc_u64 s[4:5], s[6:7], s[18:19]
	v_lshl_or_b32 v15, v1, 2, 64
	s_mul_i32 s6, s3, s20
	s_lshl_b32 s9, s20, 6
	s_branch .LBB1_6
.LBB1_5:                                ;   in Loop: Header=BB1_6 Depth=1
	s_or_b32 exec_lo, exec_lo, s7
	s_add_co_i32 s3, s3, 64
	s_add_co_i32 s6, s6, s9
	s_cmp_ge_i32 s3, s13
	s_cbranch_scc1 .LBB1_23
.LBB1_6:                                ; =>This Loop Header: Depth=1
                                        ;     Child Loop BB1_8 Depth 2
                                        ;     Child Loop BB1_22 Depth 2
	s_ashr_i32 s7, s6, 31
	v_mov_b64_e32 v[8:9], 0
	v_lshl_add_u64 v[6:7], s[6:7], 3, v[4:5]
	s_and_saveexec_b32 s7, s2
	s_cbranch_execz .LBB1_10
; %bb.7:                                ;   in Loop: Header=BB1_6 Depth=1
	v_mov_b64_e32 v[8:9], 0
	s_delay_alu instid0(VALU_DEP_2)
	v_mov_b64_e32 v[10:11], v[6:7]
	v_dual_mov_b32 v12, v2 :: v_dual_mov_b32 v13, v0
	s_mov_b32 s10, 0
.LBB1_8:                                ;   Parent Loop BB1_6 Depth=1
                                        ; =>  This Inner Loop Header: Depth=2
	global_load_b64 v[18:19], v[10:11], off
	ds_load_b64 v[20:21], v12
	v_add_nc_u32_e32 v13, 0x80, v13
	s_wait_xcnt 0x0
	v_add_nc_u64_e32 v[10:11], 0x400, v[10:11]
	v_add_nc_u32_e32 v12, 0x400, v12
	s_delay_alu instid0(VALU_DEP_3)
	v_cmp_le_i32_e32 vcc_lo, s12, v13
	s_or_b32 s10, vcc_lo, s10
	s_wait_loadcnt_dscnt 0x0
	v_fmac_f64_e32 v[8:9], v[20:21], v[18:19]
	s_and_not1_b32 exec_lo, exec_lo, s10
	s_cbranch_execnz .LBB1_8
; %bb.9:                                ;   in Loop: Header=BB1_6 Depth=1
	s_or_b32 exec_lo, exec_lo, s10
.LBB1_10:                               ;   in Loop: Header=BB1_6 Depth=1
	s_delay_alu instid0(SALU_CYCLE_1) | instskip(NEXT) | instid1(SALU_CYCLE_1)
	s_or_b32 exec_lo, exec_lo, s7
	s_and_b32 vcc_lo, exec_lo, s8
	s_cbranch_vccz .LBB1_17
; %bb.11:                               ;   in Loop: Header=BB1_6 Depth=1
	v_cmp_ne_u32_e32 vcc_lo, 31, v1
	v_add_co_ci_u32_e64 v10, null, 0, v1, vcc_lo
	v_cmp_gt_u32_e32 vcc_lo, 30, v1
	s_delay_alu instid0(VALU_DEP_2)
	v_lshlrev_b32_e32 v11, 2, v10
	v_cndmask_b32_e64 v12, 0, 2, vcc_lo
	v_cmp_gt_u32_e32 vcc_lo, 28, v1
	ds_bpermute_b32 v10, v11, v8
	ds_bpermute_b32 v11, v11, v9
	v_add_lshl_u32 v13, v12, v1, 2
	s_wait_dscnt 0x0
	v_add_f64_e32 v[10:11], v[8:9], v[10:11]
	ds_bpermute_b32 v12, v13, v10
	ds_bpermute_b32 v13, v13, v11
	s_wait_dscnt 0x0
	v_add_f64_e32 v[10:11], v[10:11], v[12:13]
	v_cndmask_b32_e64 v12, 0, 4, vcc_lo
	v_cmp_gt_u32_e32 vcc_lo, 24, v1
	s_delay_alu instid0(VALU_DEP_2)
	v_add_lshl_u32 v13, v12, v1, 2
	ds_bpermute_b32 v12, v13, v10
	ds_bpermute_b32 v13, v13, v11
	s_wait_dscnt 0x0
	v_add_f64_e32 v[10:11], v[10:11], v[12:13]
	v_cndmask_b32_e64 v12, 0, 8, vcc_lo
	s_delay_alu instid0(VALU_DEP_1)
	v_add_lshl_u32 v13, v12, v1, 2
	ds_bpermute_b32 v12, v13, v10
	ds_bpermute_b32 v13, v13, v11
	s_wait_dscnt 0x0
	v_add_f64_e32 v[10:11], v[10:11], v[12:13]
	ds_bpermute_b32 v12, v15, v10
	ds_bpermute_b32 v13, v15, v11
	s_wait_dscnt 0x0
	v_add_f64_e32 v[10:11], v[10:11], v[12:13]
	s_and_saveexec_b32 s7, s0
; %bb.12:                               ;   in Loop: Header=BB1_6 Depth=1
	ds_store_b64 v14, v[10:11] offset:16384
; %bb.13:                               ;   in Loop: Header=BB1_6 Depth=1
	s_or_b32 exec_lo, exec_lo, s7
	s_mov_b32 s10, 0
	s_mov_b32 s7, 0
	s_wait_dscnt 0x0
	s_barrier_signal -1
	s_barrier_wait -1
                                        ; implicit-def: $vgpr12_vgpr13
	s_and_saveexec_b32 s11, s1
	s_delay_alu instid0(SALU_CYCLE_1)
	s_xor_b32 s11, exec_lo, s11
	s_cbranch_execz .LBB1_15
; %bb.14:                               ;   in Loop: Header=BB1_6 Depth=1
	ds_load_2addr_b64 v[18:21], v16 offset1:1
	ds_load_b64 v[12:13], v3 offset:16408
	s_mov_b32 s7, exec_lo
	s_wait_dscnt 0x1
	v_add_f64_e32 v[10:11], v[10:11], v[18:19]
	s_delay_alu instid0(VALU_DEP_1) | instskip(SKIP_1) | instid1(VALU_DEP_1)
	v_add_f64_e32 v[10:11], v[10:11], v[20:21]
	s_wait_dscnt 0x0
	v_add_f64_e32 v[12:13], v[10:11], v[12:13]
.LBB1_15:                               ;   in Loop: Header=BB1_6 Depth=1
	s_or_b32 exec_lo, exec_lo, s11
	s_delay_alu instid0(SALU_CYCLE_1)
	s_and_b32 vcc_lo, exec_lo, s10
	s_cbranch_vccnz .LBB1_18
.LBB1_16:                               ;   in Loop: Header=BB1_6 Depth=1
	s_delay_alu instid0(VALU_DEP_1)
	v_mov_b64_e32 v[8:9], v[12:13]
	s_and_saveexec_b32 s10, s7
	s_cbranch_execnz .LBB1_19
	s_branch .LBB1_20
.LBB1_17:                               ;   in Loop: Header=BB1_6 Depth=1
	s_mov_b32 s7, 0
                                        ; implicit-def: $vgpr12_vgpr13
	s_cbranch_execz .LBB1_16
.LBB1_18:                               ;   in Loop: Header=BB1_6 Depth=1
	s_and_not1_b32 s7, s7, exec_lo
	s_and_b32 s10, s1, exec_lo
	s_delay_alu instid0(SALU_CYCLE_1) | instskip(NEXT) | instid1(SALU_CYCLE_1)
	s_or_b32 s7, s7, s10
	s_and_saveexec_b32 s10, s7
.LBB1_19:                               ;   in Loop: Header=BB1_6 Depth=1
	ds_store_b64 v3, v[8:9] offset:16384
.LBB1_20:                               ;   in Loop: Header=BB1_6 Depth=1
	s_or_b32 exec_lo, exec_lo, s10
	s_wait_dscnt 0x0
	s_barrier_signal -1
	s_barrier_wait -1
	s_and_saveexec_b32 s7, s2
	s_cbranch_execz .LBB1_5
; %bb.21:                               ;   in Loop: Header=BB1_6 Depth=1
	global_load_b64 v[8:9], v3, s[4:5]
	ds_load_b64 v[10:11], v3 offset:16384
	s_mov_b32 s10, 0
	s_wait_loadcnt_dscnt 0x0
	v_dual_mul_f64 v[8:9], v[10:11], -v[8:9] :: v_dual_mov_b32 v11, v0
	v_mov_b32_e32 v10, v2
.LBB1_22:                               ;   Parent Loop BB1_6 Depth=1
                                        ; =>  This Inner Loop Header: Depth=2
	global_load_b64 v[12:13], v[6:7], off
	ds_load_b64 v[18:19], v10
	v_add_nc_u32_e32 v11, 0x80, v11
	v_add_nc_u32_e32 v10, 0x400, v10
	s_delay_alu instid0(VALU_DEP_2)
	v_cmp_le_i32_e32 vcc_lo, s12, v11
	s_or_b32 s10, vcc_lo, s10
	s_wait_loadcnt_dscnt 0x0
	v_fmac_f64_e32 v[12:13], v[8:9], v[18:19]
	global_store_b64 v[6:7], v[12:13], off
	s_wait_xcnt 0x0
	v_add_nc_u64_e32 v[6:7], 0x400, v[6:7]
	s_and_not1_b32 exec_lo, exec_lo, s10
	s_cbranch_execnz .LBB1_22
	s_branch .LBB1_5
.LBB1_23:
	s_endpgm
	.section	.rodata,"a",@progbits
	.p2align	6, 0x0
	.amdhsa_kernel _ZN9rocsolver6v33100L22larf_left_kernel_smallILi128EdiPdEEvT1_S3_T2_lS3_lPKT0_lS4_lS3_l
		.amdhsa_group_segment_fixed_size 17408
		.amdhsa_private_segment_fixed_size 0
		.amdhsa_kernarg_size 88
		.amdhsa_user_sgpr_count 2
		.amdhsa_user_sgpr_dispatch_ptr 0
		.amdhsa_user_sgpr_queue_ptr 0
		.amdhsa_user_sgpr_kernarg_segment_ptr 1
		.amdhsa_user_sgpr_dispatch_id 0
		.amdhsa_user_sgpr_kernarg_preload_length 0
		.amdhsa_user_sgpr_kernarg_preload_offset 0
		.amdhsa_user_sgpr_private_segment_size 0
		.amdhsa_wavefront_size32 1
		.amdhsa_uses_dynamic_stack 0
		.amdhsa_enable_private_segment 0
		.amdhsa_system_sgpr_workgroup_id_x 1
		.amdhsa_system_sgpr_workgroup_id_y 1
		.amdhsa_system_sgpr_workgroup_id_z 0
		.amdhsa_system_sgpr_workgroup_info 0
		.amdhsa_system_vgpr_workitem_id 0
		.amdhsa_next_free_vgpr 22
		.amdhsa_next_free_sgpr 26
		.amdhsa_named_barrier_count 0
		.amdhsa_reserve_vcc 1
		.amdhsa_float_round_mode_32 0
		.amdhsa_float_round_mode_16_64 0
		.amdhsa_float_denorm_mode_32 3
		.amdhsa_float_denorm_mode_16_64 3
		.amdhsa_fp16_overflow 0
		.amdhsa_memory_ordered 1
		.amdhsa_forward_progress 1
		.amdhsa_inst_pref_size 10
		.amdhsa_round_robin_scheduling 0
		.amdhsa_exception_fp_ieee_invalid_op 0
		.amdhsa_exception_fp_denorm_src 0
		.amdhsa_exception_fp_ieee_div_zero 0
		.amdhsa_exception_fp_ieee_overflow 0
		.amdhsa_exception_fp_ieee_underflow 0
		.amdhsa_exception_fp_ieee_inexact 0
		.amdhsa_exception_int_div_zero 0
	.end_amdhsa_kernel
	.section	.text._ZN9rocsolver6v33100L22larf_left_kernel_smallILi128EdiPdEEvT1_S3_T2_lS3_lPKT0_lS4_lS3_l,"axG",@progbits,_ZN9rocsolver6v33100L22larf_left_kernel_smallILi128EdiPdEEvT1_S3_T2_lS3_lPKT0_lS4_lS3_l,comdat
.Lfunc_end1:
	.size	_ZN9rocsolver6v33100L22larf_left_kernel_smallILi128EdiPdEEvT1_S3_T2_lS3_lPKT0_lS4_lS3_l, .Lfunc_end1-_ZN9rocsolver6v33100L22larf_left_kernel_smallILi128EdiPdEEvT1_S3_T2_lS3_lPKT0_lS4_lS3_l
                                        ; -- End function
	.set _ZN9rocsolver6v33100L22larf_left_kernel_smallILi128EdiPdEEvT1_S3_T2_lS3_lPKT0_lS4_lS3_l.num_vgpr, 22
	.set _ZN9rocsolver6v33100L22larf_left_kernel_smallILi128EdiPdEEvT1_S3_T2_lS3_lPKT0_lS4_lS3_l.num_agpr, 0
	.set _ZN9rocsolver6v33100L22larf_left_kernel_smallILi128EdiPdEEvT1_S3_T2_lS3_lPKT0_lS4_lS3_l.numbered_sgpr, 26
	.set _ZN9rocsolver6v33100L22larf_left_kernel_smallILi128EdiPdEEvT1_S3_T2_lS3_lPKT0_lS4_lS3_l.num_named_barrier, 0
	.set _ZN9rocsolver6v33100L22larf_left_kernel_smallILi128EdiPdEEvT1_S3_T2_lS3_lPKT0_lS4_lS3_l.private_seg_size, 0
	.set _ZN9rocsolver6v33100L22larf_left_kernel_smallILi128EdiPdEEvT1_S3_T2_lS3_lPKT0_lS4_lS3_l.uses_vcc, 1
	.set _ZN9rocsolver6v33100L22larf_left_kernel_smallILi128EdiPdEEvT1_S3_T2_lS3_lPKT0_lS4_lS3_l.uses_flat_scratch, 0
	.set _ZN9rocsolver6v33100L22larf_left_kernel_smallILi128EdiPdEEvT1_S3_T2_lS3_lPKT0_lS4_lS3_l.has_dyn_sized_stack, 0
	.set _ZN9rocsolver6v33100L22larf_left_kernel_smallILi128EdiPdEEvT1_S3_T2_lS3_lPKT0_lS4_lS3_l.has_recursion, 0
	.set _ZN9rocsolver6v33100L22larf_left_kernel_smallILi128EdiPdEEvT1_S3_T2_lS3_lPKT0_lS4_lS3_l.has_indirect_call, 0
	.section	.AMDGPU.csdata,"",@progbits
; Kernel info:
; codeLenInByte = 1156
; TotalNumSgprs: 28
; NumVgprs: 22
; ScratchSize: 0
; MemoryBound: 0
; FloatMode: 240
; IeeeMode: 1
; LDSByteSize: 17408 bytes/workgroup (compile time only)
; SGPRBlocks: 0
; VGPRBlocks: 1
; NumSGPRsForWavesPerEU: 28
; NumVGPRsForWavesPerEU: 22
; NamedBarCnt: 0
; Occupancy: 16
; WaveLimiterHint : 0
; COMPUTE_PGM_RSRC2:SCRATCH_EN: 0
; COMPUTE_PGM_RSRC2:USER_SGPR: 2
; COMPUTE_PGM_RSRC2:TRAP_HANDLER: 0
; COMPUTE_PGM_RSRC2:TGID_X_EN: 1
; COMPUTE_PGM_RSRC2:TGID_Y_EN: 1
; COMPUTE_PGM_RSRC2:TGID_Z_EN: 0
; COMPUTE_PGM_RSRC2:TIDIG_COMP_CNT: 0
	.section	.text._ZN9rocsolver6v33100L22larf_left_kernel_smallILi256EdiPdEEvT1_S3_T2_lS3_lPKT0_lS4_lS3_l,"axG",@progbits,_ZN9rocsolver6v33100L22larf_left_kernel_smallILi256EdiPdEEvT1_S3_T2_lS3_lPKT0_lS4_lS3_l,comdat
	.globl	_ZN9rocsolver6v33100L22larf_left_kernel_smallILi256EdiPdEEvT1_S3_T2_lS3_lPKT0_lS4_lS3_l ; -- Begin function _ZN9rocsolver6v33100L22larf_left_kernel_smallILi256EdiPdEEvT1_S3_T2_lS3_lPKT0_lS4_lS3_l
	.p2align	8
	.type	_ZN9rocsolver6v33100L22larf_left_kernel_smallILi256EdiPdEEvT1_S3_T2_lS3_lPKT0_lS4_lS3_l,@function
_ZN9rocsolver6v33100L22larf_left_kernel_smallILi256EdiPdEEvT1_S3_T2_lS3_lPKT0_lS4_lS3_l: ; @_ZN9rocsolver6v33100L22larf_left_kernel_smallILi256EdiPdEEvT1_S3_T2_lS3_lPKT0_lS4_lS3_l
; %bb.0:
	s_clause 0x2
	s_load_b64 s[12:13], s[0:1], 0x0
	s_load_b256 s[4:11], s[0:1], 0x20
	s_load_b64 s[14:15], s[0:1], 0x40
	s_bfe_u32 s2, ttmp6, 0x4000c
	s_and_b32 s16, ttmp6, 15
	s_add_co_i32 s2, s2, 1
	s_getreg_b32 s3, hwreg(HW_REG_IB_STS2, 6, 4)
	s_mul_i32 s2, ttmp9, s2
	v_lshlrev_b32_e32 v2, 3, v0
	s_add_co_i32 s16, s16, s2
	s_cmp_eq_u32 s3, 0
	s_mov_b32 s18, 0
	s_cselect_b32 s16, ttmp9, s16
	s_delay_alu instid0(SALU_CYCLE_1)
	s_ashr_i32 s17, s16, 31
	s_wait_kmcnt 0x0
	v_cmp_gt_i32_e64 s2, s12, v0
	s_and_saveexec_b32 s19, s2
	s_cbranch_execz .LBB2_3
; %bb.1:
	s_clause 0x1
	s_load_b128 s[20:23], s[0:1], 0x8
	s_load_b32 s24, s[0:1], 0x18
	s_mul_u64 s[4:5], s[4:5], s[16:17]
	s_sub_co_i32 s25, 1, s12
	s_lshl_b64 s[4:5], s[4:5], 3
	v_dual_mov_b32 v4, v0 :: v_dual_lshlrev_b32 v3, 3, v0
	s_wait_kmcnt 0x0
	s_lshl_b64 s[22:23], s[22:23], 3
	s_mul_i32 s25, s24, s25
	s_cmp_lt_i32 s24, 1
	s_add_nc_u64 s[4:5], s[20:21], s[4:5]
	s_cselect_b32 s25, s25, 0
	s_add_nc_u64 s[4:5], s[4:5], s[22:23]
	v_mad_u32 v1, v0, s24, s25
	s_lshl_b32 s20, s24, 8
.LBB2_2:                                ; =>This Inner Loop Header: Depth=1
	global_load_b64 v[6:7], v1, s[4:5] scale_offset
	v_add_nc_u32_e32 v4, 0x100, v4
	s_wait_xcnt 0x0
	v_add_nc_u32_e32 v1, s20, v1
	s_delay_alu instid0(VALU_DEP_2)
	v_cmp_le_i32_e32 vcc_lo, s12, v4
	s_or_b32 s18, vcc_lo, s18
	s_wait_loadcnt 0x0
	ds_store_b64 v3, v[6:7]
	v_add_nc_u32_e32 v3, 0x800, v3
	s_and_not1_b32 exec_lo, exec_lo, s18
	s_cbranch_execnz .LBB2_2
.LBB2_3:
	s_or_b32 exec_lo, exec_lo, s19
	s_bfe_u32 s4, ttmp6, 0x40010
	s_bfe_u32 s5, ttmp6, 0x40004
	s_add_co_i32 s4, s4, 1
	s_wait_dscnt 0x0
	s_mul_i32 s4, ttmp7, s4
	s_barrier_signal -1
	s_add_co_i32 s5, s5, s4
	s_cmp_eq_u32 s3, 0
	s_barrier_wait -1
	s_cselect_b32 s3, ttmp7, s5
	s_delay_alu instid0(SALU_CYCLE_1)
	s_cmp_ge_i32 s3, s13
	s_cbranch_scc1 .LBB2_23
; %bb.4:
	s_clause 0x1
	s_load_b64 s[4:5], s[0:1], 0x50
	s_load_b32 s20, s[0:1], 0x48
	s_mul_u64 s[8:9], s[8:9], s[16:17]
	v_dual_lshrrev_b32 v1, 2, v0 :: v_dual_bitop2_b32 v4, 31, v0 bitop3:0x40
	s_lshl_b64 s[18:19], s[8:9], 3
	s_cmp_gt_i32 s12, 1
	v_dual_mov_b32 v3, 0 :: v_dual_mov_b32 v16, 0x4008
	s_cselect_b32 s8, -1, 0
	s_lshl_b64 s[14:15], s[14:15], 3
	v_mbcnt_lo_u32_b32 v14, -1, 0
	s_wait_xcnt 0x0
	v_cmp_eq_u32_e64 s1, 0, v4
	v_cmp_eq_u32_e64 s0, 0, v0
	v_mov_b32_e32 v17, 0x4018
	v_mov_b32_e32 v18, 0x4028
	v_lshl_or_b32 v15, v14, 2, 64
	s_wait_kmcnt 0x0
	s_mul_u64 s[4:5], s[4:5], s[16:17]
	s_lshl_b32 s9, s20, 6
	s_lshl_b64 s[4:5], s[4:5], 3
	s_delay_alu instid0(SALU_CYCLE_1) | instskip(NEXT) | instid1(SALU_CYCLE_1)
	s_add_nc_u64 s[4:5], s[4:5], s[14:15]
	s_add_nc_u64 s[4:5], s[10:11], s[4:5]
	s_delay_alu instid0(SALU_CYCLE_1)
	v_add_nc_u64_e32 v[4:5], s[4:5], v[2:3]
	s_add_nc_u64 s[4:5], s[6:7], s[18:19]
	s_mul_i32 s6, s3, s20
	s_branch .LBB2_6
.LBB2_5:                                ;   in Loop: Header=BB2_6 Depth=1
	s_or_b32 exec_lo, exec_lo, s7
	s_add_co_i32 s3, s3, 64
	s_add_co_i32 s6, s6, s9
	s_cmp_ge_i32 s3, s13
	s_cbranch_scc1 .LBB2_23
.LBB2_6:                                ; =>This Loop Header: Depth=1
                                        ;     Child Loop BB2_8 Depth 2
                                        ;     Child Loop BB2_22 Depth 2
	s_ashr_i32 s7, s6, 31
	v_mov_b64_e32 v[8:9], 0
	s_delay_alu instid0(VALU_DEP_2)
	v_lshl_add_u64 v[6:7], s[6:7], 3, v[4:5]
	s_and_saveexec_b32 s7, s2
	s_cbranch_execz .LBB2_10
; %bb.7:                                ;   in Loop: Header=BB2_6 Depth=1
	v_mov_b64_e32 v[8:9], 0
	s_delay_alu instid0(VALU_DEP_2)
	v_mov_b64_e32 v[10:11], v[6:7]
	v_dual_mov_b32 v12, v2 :: v_dual_mov_b32 v13, v0
	s_mov_b32 s10, 0
.LBB2_8:                                ;   Parent Loop BB2_6 Depth=1
                                        ; =>  This Inner Loop Header: Depth=2
	global_load_b64 v[20:21], v[10:11], off
	ds_load_b64 v[22:23], v12
	v_add_nc_u32_e32 v13, 0x100, v13
	s_wait_xcnt 0x0
	v_add_nc_u64_e32 v[10:11], 0x800, v[10:11]
	v_add_nc_u32_e32 v12, 0x800, v12
	s_delay_alu instid0(VALU_DEP_3)
	v_cmp_le_i32_e32 vcc_lo, s12, v13
	s_or_b32 s10, vcc_lo, s10
	s_wait_loadcnt_dscnt 0x0
	v_fmac_f64_e32 v[8:9], v[22:23], v[20:21]
	s_and_not1_b32 exec_lo, exec_lo, s10
	s_cbranch_execnz .LBB2_8
; %bb.9:                                ;   in Loop: Header=BB2_6 Depth=1
	s_or_b32 exec_lo, exec_lo, s10
.LBB2_10:                               ;   in Loop: Header=BB2_6 Depth=1
	s_delay_alu instid0(SALU_CYCLE_1) | instskip(NEXT) | instid1(SALU_CYCLE_1)
	s_or_b32 exec_lo, exec_lo, s7
	s_and_b32 vcc_lo, exec_lo, s8
	s_cbranch_vccz .LBB2_17
; %bb.11:                               ;   in Loop: Header=BB2_6 Depth=1
	v_cmp_ne_u32_e32 vcc_lo, 31, v14
	v_add_co_ci_u32_e64 v10, null, 0, v14, vcc_lo
	v_cmp_gt_u32_e32 vcc_lo, 30, v14
	s_delay_alu instid0(VALU_DEP_2)
	v_lshlrev_b32_e32 v11, 2, v10
	v_cndmask_b32_e64 v12, 0, 2, vcc_lo
	v_cmp_gt_u32_e32 vcc_lo, 28, v14
	ds_bpermute_b32 v10, v11, v8
	ds_bpermute_b32 v11, v11, v9
	v_add_lshl_u32 v13, v12, v14, 2
	s_wait_dscnt 0x0
	v_add_f64_e32 v[10:11], v[8:9], v[10:11]
	ds_bpermute_b32 v12, v13, v10
	ds_bpermute_b32 v13, v13, v11
	s_wait_dscnt 0x0
	v_add_f64_e32 v[10:11], v[10:11], v[12:13]
	v_cndmask_b32_e64 v12, 0, 4, vcc_lo
	v_cmp_gt_u32_e32 vcc_lo, 24, v14
	s_delay_alu instid0(VALU_DEP_2)
	v_add_lshl_u32 v13, v12, v14, 2
	ds_bpermute_b32 v12, v13, v10
	ds_bpermute_b32 v13, v13, v11
	s_wait_dscnt 0x0
	v_add_f64_e32 v[10:11], v[10:11], v[12:13]
	v_cndmask_b32_e64 v12, 0, 8, vcc_lo
	s_delay_alu instid0(VALU_DEP_1)
	v_add_lshl_u32 v13, v12, v14, 2
	ds_bpermute_b32 v12, v13, v10
	ds_bpermute_b32 v13, v13, v11
	s_wait_dscnt 0x0
	v_add_f64_e32 v[10:11], v[10:11], v[12:13]
	ds_bpermute_b32 v12, v15, v10
	ds_bpermute_b32 v13, v15, v11
	s_wait_dscnt 0x0
	v_add_f64_e32 v[10:11], v[10:11], v[12:13]
	s_and_saveexec_b32 s7, s1
; %bb.12:                               ;   in Loop: Header=BB2_6 Depth=1
	ds_store_b64 v1, v[10:11] offset:16384
; %bb.13:                               ;   in Loop: Header=BB2_6 Depth=1
	s_or_b32 exec_lo, exec_lo, s7
	s_mov_b32 s10, 0
	s_mov_b32 s7, 0
	s_wait_dscnt 0x0
	s_barrier_signal -1
	s_barrier_wait -1
                                        ; implicit-def: $vgpr12_vgpr13
	s_and_saveexec_b32 s11, s0
	s_delay_alu instid0(SALU_CYCLE_1)
	s_xor_b32 s11, exec_lo, s11
	s_cbranch_execz .LBB2_15
; %bb.14:                               ;   in Loop: Header=BB2_6 Depth=1
	ds_load_2addr_b64 v[20:23], v16 offset1:1
	ds_load_2addr_b64 v[24:27], v17 offset1:1
	s_mov_b32 s7, exec_lo
	s_wait_dscnt 0x1
	v_add_f64_e32 v[10:11], v[10:11], v[20:21]
	s_delay_alu instid0(VALU_DEP_1) | instskip(SKIP_1) | instid1(VALU_DEP_1)
	v_add_f64_e32 v[10:11], v[10:11], v[22:23]
	s_wait_dscnt 0x0
	v_add_f64_e32 v[10:11], v[10:11], v[24:25]
	s_delay_alu instid0(VALU_DEP_1) | instskip(SKIP_4) | instid1(VALU_DEP_1)
	v_add_f64_e32 v[20:21], v[10:11], v[26:27]
	ds_load_2addr_b64 v[10:13], v18 offset1:1
	ds_load_b64 v[22:23], v3 offset:16440
	s_wait_dscnt 0x1
	v_add_f64_e32 v[10:11], v[20:21], v[10:11]
	v_add_f64_e32 v[10:11], v[10:11], v[12:13]
	s_wait_dscnt 0x0
	s_delay_alu instid0(VALU_DEP_1)
	v_add_f64_e32 v[12:13], v[10:11], v[22:23]
.LBB2_15:                               ;   in Loop: Header=BB2_6 Depth=1
	s_or_b32 exec_lo, exec_lo, s11
	s_delay_alu instid0(SALU_CYCLE_1)
	s_and_b32 vcc_lo, exec_lo, s10
	s_cbranch_vccnz .LBB2_18
.LBB2_16:                               ;   in Loop: Header=BB2_6 Depth=1
	s_delay_alu instid0(VALU_DEP_1)
	v_mov_b64_e32 v[8:9], v[12:13]
	s_and_saveexec_b32 s10, s7
	s_cbranch_execnz .LBB2_19
	s_branch .LBB2_20
.LBB2_17:                               ;   in Loop: Header=BB2_6 Depth=1
	s_mov_b32 s7, 0
                                        ; implicit-def: $vgpr12_vgpr13
	s_cbranch_execz .LBB2_16
.LBB2_18:                               ;   in Loop: Header=BB2_6 Depth=1
	s_and_not1_b32 s7, s7, exec_lo
	s_and_b32 s10, s0, exec_lo
	s_delay_alu instid0(SALU_CYCLE_1) | instskip(NEXT) | instid1(SALU_CYCLE_1)
	s_or_b32 s7, s7, s10
	s_and_saveexec_b32 s10, s7
.LBB2_19:                               ;   in Loop: Header=BB2_6 Depth=1
	ds_store_b64 v3, v[8:9] offset:16384
.LBB2_20:                               ;   in Loop: Header=BB2_6 Depth=1
	s_or_b32 exec_lo, exec_lo, s10
	s_wait_dscnt 0x0
	s_barrier_signal -1
	s_barrier_wait -1
	s_and_saveexec_b32 s7, s2
	s_cbranch_execz .LBB2_5
; %bb.21:                               ;   in Loop: Header=BB2_6 Depth=1
	global_load_b64 v[8:9], v3, s[4:5]
	ds_load_b64 v[10:11], v3 offset:16384
	s_mov_b32 s10, 0
	s_wait_loadcnt_dscnt 0x0
	v_dual_mul_f64 v[8:9], v[10:11], -v[8:9] :: v_dual_mov_b32 v11, v0
	v_mov_b32_e32 v10, v2
.LBB2_22:                               ;   Parent Loop BB2_6 Depth=1
                                        ; =>  This Inner Loop Header: Depth=2
	global_load_b64 v[12:13], v[6:7], off
	ds_load_b64 v[20:21], v10
	v_add_nc_u32_e32 v11, 0x100, v11
	v_add_nc_u32_e32 v10, 0x800, v10
	s_delay_alu instid0(VALU_DEP_2)
	v_cmp_le_i32_e32 vcc_lo, s12, v11
	s_or_b32 s10, vcc_lo, s10
	s_wait_loadcnt_dscnt 0x0
	v_fmac_f64_e32 v[12:13], v[8:9], v[20:21]
	global_store_b64 v[6:7], v[12:13], off
	s_wait_xcnt 0x0
	v_add_nc_u64_e32 v[6:7], 0x800, v[6:7]
	s_and_not1_b32 exec_lo, exec_lo, s10
	s_cbranch_execnz .LBB2_22
	s_branch .LBB2_5
.LBB2_23:
	s_endpgm
	.section	.rodata,"a",@progbits
	.p2align	6, 0x0
	.amdhsa_kernel _ZN9rocsolver6v33100L22larf_left_kernel_smallILi256EdiPdEEvT1_S3_T2_lS3_lPKT0_lS4_lS3_l
		.amdhsa_group_segment_fixed_size 18432
		.amdhsa_private_segment_fixed_size 0
		.amdhsa_kernarg_size 88
		.amdhsa_user_sgpr_count 2
		.amdhsa_user_sgpr_dispatch_ptr 0
		.amdhsa_user_sgpr_queue_ptr 0
		.amdhsa_user_sgpr_kernarg_segment_ptr 1
		.amdhsa_user_sgpr_dispatch_id 0
		.amdhsa_user_sgpr_kernarg_preload_length 0
		.amdhsa_user_sgpr_kernarg_preload_offset 0
		.amdhsa_user_sgpr_private_segment_size 0
		.amdhsa_wavefront_size32 1
		.amdhsa_uses_dynamic_stack 0
		.amdhsa_enable_private_segment 0
		.amdhsa_system_sgpr_workgroup_id_x 1
		.amdhsa_system_sgpr_workgroup_id_y 1
		.amdhsa_system_sgpr_workgroup_id_z 0
		.amdhsa_system_sgpr_workgroup_info 0
		.amdhsa_system_vgpr_workitem_id 0
		.amdhsa_next_free_vgpr 28
		.amdhsa_next_free_sgpr 26
		.amdhsa_named_barrier_count 0
		.amdhsa_reserve_vcc 1
		.amdhsa_float_round_mode_32 0
		.amdhsa_float_round_mode_16_64 0
		.amdhsa_float_denorm_mode_32 3
		.amdhsa_float_denorm_mode_16_64 3
		.amdhsa_fp16_overflow 0
		.amdhsa_memory_ordered 1
		.amdhsa_forward_progress 1
		.amdhsa_inst_pref_size 10
		.amdhsa_round_robin_scheduling 0
		.amdhsa_exception_fp_ieee_invalid_op 0
		.amdhsa_exception_fp_denorm_src 0
		.amdhsa_exception_fp_ieee_div_zero 0
		.amdhsa_exception_fp_ieee_overflow 0
		.amdhsa_exception_fp_ieee_underflow 0
		.amdhsa_exception_fp_ieee_inexact 0
		.amdhsa_exception_int_div_zero 0
	.end_amdhsa_kernel
	.section	.text._ZN9rocsolver6v33100L22larf_left_kernel_smallILi256EdiPdEEvT1_S3_T2_lS3_lPKT0_lS4_lS3_l,"axG",@progbits,_ZN9rocsolver6v33100L22larf_left_kernel_smallILi256EdiPdEEvT1_S3_T2_lS3_lPKT0_lS4_lS3_l,comdat
.Lfunc_end2:
	.size	_ZN9rocsolver6v33100L22larf_left_kernel_smallILi256EdiPdEEvT1_S3_T2_lS3_lPKT0_lS4_lS3_l, .Lfunc_end2-_ZN9rocsolver6v33100L22larf_left_kernel_smallILi256EdiPdEEvT1_S3_T2_lS3_lPKT0_lS4_lS3_l
                                        ; -- End function
	.set _ZN9rocsolver6v33100L22larf_left_kernel_smallILi256EdiPdEEvT1_S3_T2_lS3_lPKT0_lS4_lS3_l.num_vgpr, 28
	.set _ZN9rocsolver6v33100L22larf_left_kernel_smallILi256EdiPdEEvT1_S3_T2_lS3_lPKT0_lS4_lS3_l.num_agpr, 0
	.set _ZN9rocsolver6v33100L22larf_left_kernel_smallILi256EdiPdEEvT1_S3_T2_lS3_lPKT0_lS4_lS3_l.numbered_sgpr, 26
	.set _ZN9rocsolver6v33100L22larf_left_kernel_smallILi256EdiPdEEvT1_S3_T2_lS3_lPKT0_lS4_lS3_l.num_named_barrier, 0
	.set _ZN9rocsolver6v33100L22larf_left_kernel_smallILi256EdiPdEEvT1_S3_T2_lS3_lPKT0_lS4_lS3_l.private_seg_size, 0
	.set _ZN9rocsolver6v33100L22larf_left_kernel_smallILi256EdiPdEEvT1_S3_T2_lS3_lPKT0_lS4_lS3_l.uses_vcc, 1
	.set _ZN9rocsolver6v33100L22larf_left_kernel_smallILi256EdiPdEEvT1_S3_T2_lS3_lPKT0_lS4_lS3_l.uses_flat_scratch, 0
	.set _ZN9rocsolver6v33100L22larf_left_kernel_smallILi256EdiPdEEvT1_S3_T2_lS3_lPKT0_lS4_lS3_l.has_dyn_sized_stack, 0
	.set _ZN9rocsolver6v33100L22larf_left_kernel_smallILi256EdiPdEEvT1_S3_T2_lS3_lPKT0_lS4_lS3_l.has_recursion, 0
	.set _ZN9rocsolver6v33100L22larf_left_kernel_smallILi256EdiPdEEvT1_S3_T2_lS3_lPKT0_lS4_lS3_l.has_indirect_call, 0
	.section	.AMDGPU.csdata,"",@progbits
; Kernel info:
; codeLenInByte = 1232
; TotalNumSgprs: 28
; NumVgprs: 28
; ScratchSize: 0
; MemoryBound: 0
; FloatMode: 240
; IeeeMode: 1
; LDSByteSize: 18432 bytes/workgroup (compile time only)
; SGPRBlocks: 0
; VGPRBlocks: 1
; NumSGPRsForWavesPerEU: 28
; NumVGPRsForWavesPerEU: 28
; NamedBarCnt: 0
; Occupancy: 16
; WaveLimiterHint : 0
; COMPUTE_PGM_RSRC2:SCRATCH_EN: 0
; COMPUTE_PGM_RSRC2:USER_SGPR: 2
; COMPUTE_PGM_RSRC2:TRAP_HANDLER: 0
; COMPUTE_PGM_RSRC2:TGID_X_EN: 1
; COMPUTE_PGM_RSRC2:TGID_Y_EN: 1
; COMPUTE_PGM_RSRC2:TGID_Z_EN: 0
; COMPUTE_PGM_RSRC2:TIDIG_COMP_CNT: 0
	.section	.text._ZN9rocsolver6v33100L22larf_left_kernel_smallILi512EdiPdEEvT1_S3_T2_lS3_lPKT0_lS4_lS3_l,"axG",@progbits,_ZN9rocsolver6v33100L22larf_left_kernel_smallILi512EdiPdEEvT1_S3_T2_lS3_lPKT0_lS4_lS3_l,comdat
	.globl	_ZN9rocsolver6v33100L22larf_left_kernel_smallILi512EdiPdEEvT1_S3_T2_lS3_lPKT0_lS4_lS3_l ; -- Begin function _ZN9rocsolver6v33100L22larf_left_kernel_smallILi512EdiPdEEvT1_S3_T2_lS3_lPKT0_lS4_lS3_l
	.p2align	8
	.type	_ZN9rocsolver6v33100L22larf_left_kernel_smallILi512EdiPdEEvT1_S3_T2_lS3_lPKT0_lS4_lS3_l,@function
_ZN9rocsolver6v33100L22larf_left_kernel_smallILi512EdiPdEEvT1_S3_T2_lS3_lPKT0_lS4_lS3_l: ; @_ZN9rocsolver6v33100L22larf_left_kernel_smallILi512EdiPdEEvT1_S3_T2_lS3_lPKT0_lS4_lS3_l
; %bb.0:
	s_clause 0x2
	s_load_b64 s[12:13], s[0:1], 0x0
	s_load_b256 s[4:11], s[0:1], 0x20
	s_load_b64 s[14:15], s[0:1], 0x40
	s_bfe_u32 s2, ttmp6, 0x4000c
	s_and_b32 s16, ttmp6, 15
	s_add_co_i32 s2, s2, 1
	s_getreg_b32 s3, hwreg(HW_REG_IB_STS2, 6, 4)
	s_mul_i32 s2, ttmp9, s2
	v_lshlrev_b32_e32 v2, 3, v0
	s_add_co_i32 s16, s16, s2
	s_cmp_eq_u32 s3, 0
	s_mov_b32 s18, 0
	s_cselect_b32 s16, ttmp9, s16
	s_delay_alu instid0(SALU_CYCLE_1)
	s_ashr_i32 s17, s16, 31
	s_wait_kmcnt 0x0
	v_cmp_gt_i32_e64 s2, s12, v0
	s_and_saveexec_b32 s19, s2
	s_cbranch_execz .LBB3_3
; %bb.1:
	s_clause 0x1
	s_load_b128 s[20:23], s[0:1], 0x8
	s_load_b32 s24, s[0:1], 0x18
	s_mul_u64 s[4:5], s[4:5], s[16:17]
	s_sub_co_i32 s25, 1, s12
	s_lshl_b64 s[4:5], s[4:5], 3
	v_dual_mov_b32 v4, v0 :: v_dual_lshlrev_b32 v3, 3, v0
	s_wait_kmcnt 0x0
	s_lshl_b64 s[22:23], s[22:23], 3
	s_mul_i32 s25, s24, s25
	s_cmp_lt_i32 s24, 1
	s_add_nc_u64 s[4:5], s[20:21], s[4:5]
	s_cselect_b32 s25, s25, 0
	s_add_nc_u64 s[4:5], s[4:5], s[22:23]
	v_mad_u32 v1, v0, s24, s25
	s_lshl_b32 s20, s24, 9
.LBB3_2:                                ; =>This Inner Loop Header: Depth=1
	global_load_b64 v[6:7], v1, s[4:5] scale_offset
	v_add_nc_u32_e32 v4, 0x200, v4
	s_wait_xcnt 0x0
	v_add_nc_u32_e32 v1, s20, v1
	s_delay_alu instid0(VALU_DEP_2)
	v_cmp_le_i32_e32 vcc_lo, s12, v4
	s_or_b32 s18, vcc_lo, s18
	s_wait_loadcnt 0x0
	ds_store_b64 v3, v[6:7]
	v_add_nc_u32_e32 v3, 0x1000, v3
	s_and_not1_b32 exec_lo, exec_lo, s18
	s_cbranch_execnz .LBB3_2
.LBB3_3:
	s_or_b32 exec_lo, exec_lo, s19
	s_bfe_u32 s4, ttmp6, 0x40010
	s_bfe_u32 s5, ttmp6, 0x40004
	s_add_co_i32 s4, s4, 1
	s_wait_dscnt 0x0
	s_mul_i32 s4, ttmp7, s4
	s_barrier_signal -1
	s_add_co_i32 s5, s5, s4
	s_cmp_eq_u32 s3, 0
	s_barrier_wait -1
	s_cselect_b32 s3, ttmp7, s5
	s_delay_alu instid0(SALU_CYCLE_1)
	s_cmp_ge_i32 s3, s13
	s_cbranch_scc1 .LBB3_23
; %bb.4:
	s_clause 0x1
	s_load_b64 s[4:5], s[0:1], 0x50
	s_load_b32 s20, s[0:1], 0x48
	s_mul_u64 s[8:9], s[8:9], s[16:17]
	v_dual_lshrrev_b32 v1, 2, v0 :: v_dual_bitop2_b32 v4, 31, v0 bitop3:0x40
	s_lshl_b64 s[18:19], s[8:9], 3
	s_cmp_gt_i32 s12, 1
	v_dual_mov_b32 v3, 0 :: v_dual_mov_b32 v16, 0x4018
	s_cselect_b32 s8, -1, 0
	s_lshl_b64 s[14:15], s[14:15], 3
	v_mbcnt_lo_u32_b32 v14, -1, 0
	s_wait_xcnt 0x0
	v_cmp_eq_u32_e64 s1, 0, v4
	v_cmp_eq_u32_e64 s0, 0, v0
	v_mov_b32_e32 v15, 0x4008
	v_mov_b32_e32 v17, 0x4028
	;; [unrolled: 1-line block ×3, first 2 shown]
	v_lshl_or_b32 v19, v14, 2, 64
	v_mov_b32_e32 v20, 0x4048
	v_mov_b32_e32 v21, 0x4058
	s_wait_kmcnt 0x0
	s_mul_u64 s[4:5], s[4:5], s[16:17]
	v_mov_b32_e32 v22, 0x4068
	s_lshl_b64 s[4:5], s[4:5], 3
	s_lshl_b32 s9, s20, 6
	s_add_nc_u64 s[4:5], s[4:5], s[14:15]
	s_delay_alu instid0(SALU_CYCLE_1) | instskip(NEXT) | instid1(SALU_CYCLE_1)
	s_add_nc_u64 s[4:5], s[10:11], s[4:5]
	v_add_nc_u64_e32 v[4:5], s[4:5], v[2:3]
	s_add_nc_u64 s[4:5], s[6:7], s[18:19]
	s_mul_i32 s6, s3, s20
	s_branch .LBB3_6
.LBB3_5:                                ;   in Loop: Header=BB3_6 Depth=1
	s_or_b32 exec_lo, exec_lo, s7
	s_add_co_i32 s3, s3, 64
	s_add_co_i32 s6, s6, s9
	s_cmp_ge_i32 s3, s13
	s_cbranch_scc1 .LBB3_23
.LBB3_6:                                ; =>This Loop Header: Depth=1
                                        ;     Child Loop BB3_8 Depth 2
                                        ;     Child Loop BB3_22 Depth 2
	s_ashr_i32 s7, s6, 31
	v_mov_b64_e32 v[8:9], 0
	s_delay_alu instid0(VALU_DEP_2)
	v_lshl_add_u64 v[6:7], s[6:7], 3, v[4:5]
	s_and_saveexec_b32 s7, s2
	s_cbranch_execz .LBB3_10
; %bb.7:                                ;   in Loop: Header=BB3_6 Depth=1
	v_mov_b64_e32 v[8:9], 0
	s_delay_alu instid0(VALU_DEP_2)
	v_mov_b64_e32 v[10:11], v[6:7]
	v_dual_mov_b32 v12, v2 :: v_dual_mov_b32 v13, v0
	s_mov_b32 s10, 0
.LBB3_8:                                ;   Parent Loop BB3_6 Depth=1
                                        ; =>  This Inner Loop Header: Depth=2
	global_load_b64 v[24:25], v[10:11], off
	ds_load_b64 v[26:27], v12
	v_add_nc_u32_e32 v13, 0x200, v13
	s_wait_xcnt 0x0
	v_add_nc_u64_e32 v[10:11], 0x1000, v[10:11]
	v_add_nc_u32_e32 v12, 0x1000, v12
	s_delay_alu instid0(VALU_DEP_3)
	v_cmp_le_i32_e32 vcc_lo, s12, v13
	s_or_b32 s10, vcc_lo, s10
	s_wait_loadcnt_dscnt 0x0
	v_fmac_f64_e32 v[8:9], v[26:27], v[24:25]
	s_and_not1_b32 exec_lo, exec_lo, s10
	s_cbranch_execnz .LBB3_8
; %bb.9:                                ;   in Loop: Header=BB3_6 Depth=1
	s_or_b32 exec_lo, exec_lo, s10
.LBB3_10:                               ;   in Loop: Header=BB3_6 Depth=1
	s_delay_alu instid0(SALU_CYCLE_1) | instskip(NEXT) | instid1(SALU_CYCLE_1)
	s_or_b32 exec_lo, exec_lo, s7
	s_and_b32 vcc_lo, exec_lo, s8
	s_cbranch_vccz .LBB3_17
; %bb.11:                               ;   in Loop: Header=BB3_6 Depth=1
	v_cmp_ne_u32_e32 vcc_lo, 31, v14
	v_add_co_ci_u32_e64 v10, null, 0, v14, vcc_lo
	v_cmp_gt_u32_e32 vcc_lo, 30, v14
	s_delay_alu instid0(VALU_DEP_2)
	v_lshlrev_b32_e32 v11, 2, v10
	v_cndmask_b32_e64 v12, 0, 2, vcc_lo
	v_cmp_gt_u32_e32 vcc_lo, 28, v14
	ds_bpermute_b32 v10, v11, v8
	ds_bpermute_b32 v11, v11, v9
	v_add_lshl_u32 v13, v12, v14, 2
	s_wait_dscnt 0x0
	v_add_f64_e32 v[10:11], v[8:9], v[10:11]
	ds_bpermute_b32 v12, v13, v10
	ds_bpermute_b32 v13, v13, v11
	s_wait_dscnt 0x0
	v_add_f64_e32 v[10:11], v[10:11], v[12:13]
	v_cndmask_b32_e64 v12, 0, 4, vcc_lo
	v_cmp_gt_u32_e32 vcc_lo, 24, v14
	s_delay_alu instid0(VALU_DEP_2)
	v_add_lshl_u32 v13, v12, v14, 2
	ds_bpermute_b32 v12, v13, v10
	ds_bpermute_b32 v13, v13, v11
	s_wait_dscnt 0x0
	v_add_f64_e32 v[10:11], v[10:11], v[12:13]
	v_cndmask_b32_e64 v12, 0, 8, vcc_lo
	s_delay_alu instid0(VALU_DEP_1)
	v_add_lshl_u32 v13, v12, v14, 2
	ds_bpermute_b32 v12, v13, v10
	ds_bpermute_b32 v13, v13, v11
	s_wait_dscnt 0x0
	v_add_f64_e32 v[10:11], v[10:11], v[12:13]
	ds_bpermute_b32 v12, v19, v10
	ds_bpermute_b32 v13, v19, v11
	s_wait_dscnt 0x0
	v_add_f64_e32 v[10:11], v[10:11], v[12:13]
	s_and_saveexec_b32 s7, s1
; %bb.12:                               ;   in Loop: Header=BB3_6 Depth=1
	ds_store_b64 v1, v[10:11] offset:16384
; %bb.13:                               ;   in Loop: Header=BB3_6 Depth=1
	s_or_b32 exec_lo, exec_lo, s7
	s_mov_b32 s10, 0
	s_mov_b32 s7, 0
	s_wait_dscnt 0x0
	s_barrier_signal -1
	s_barrier_wait -1
                                        ; implicit-def: $vgpr12_vgpr13
	s_and_saveexec_b32 s11, s0
	s_delay_alu instid0(SALU_CYCLE_1)
	s_xor_b32 s11, exec_lo, s11
	s_cbranch_execz .LBB3_15
; %bb.14:                               ;   in Loop: Header=BB3_6 Depth=1
	ds_load_2addr_b64 v[24:27], v15 offset1:1
	ds_load_2addr_b64 v[28:31], v16 offset1:1
	s_mov_b32 s7, exec_lo
	s_wait_dscnt 0x1
	v_add_f64_e32 v[10:11], v[10:11], v[24:25]
	s_delay_alu instid0(VALU_DEP_1) | instskip(SKIP_1) | instid1(VALU_DEP_1)
	v_add_f64_e32 v[10:11], v[10:11], v[26:27]
	s_wait_dscnt 0x0
	v_add_f64_e32 v[10:11], v[10:11], v[28:29]
	s_delay_alu instid0(VALU_DEP_1) | instskip(SKIP_4) | instid1(VALU_DEP_1)
	v_add_f64_e32 v[28:29], v[10:11], v[30:31]
	ds_load_2addr_b64 v[10:13], v17 offset1:1
	ds_load_2addr_b64 v[24:27], v18 offset1:1
	s_wait_dscnt 0x1
	v_add_f64_e32 v[10:11], v[28:29], v[10:11]
	v_add_f64_e32 v[10:11], v[10:11], v[12:13]
	s_wait_dscnt 0x0
	s_delay_alu instid0(VALU_DEP_1) | instskip(NEXT) | instid1(VALU_DEP_1)
	v_add_f64_e32 v[10:11], v[10:11], v[24:25]
	v_add_f64_e32 v[28:29], v[10:11], v[26:27]
	ds_load_2addr_b64 v[10:13], v20 offset1:1
	ds_load_2addr_b64 v[24:27], v21 offset1:1
	s_wait_dscnt 0x1
	v_add_f64_e32 v[10:11], v[28:29], v[10:11]
	s_delay_alu instid0(VALU_DEP_1) | instskip(SKIP_1) | instid1(VALU_DEP_1)
	v_add_f64_e32 v[10:11], v[10:11], v[12:13]
	s_wait_dscnt 0x0
	v_add_f64_e32 v[10:11], v[10:11], v[24:25]
	s_delay_alu instid0(VALU_DEP_1) | instskip(SKIP_4) | instid1(VALU_DEP_1)
	v_add_f64_e32 v[24:25], v[10:11], v[26:27]
	ds_load_2addr_b64 v[10:13], v22 offset1:1
	ds_load_b64 v[26:27], v3 offset:16504
	s_wait_dscnt 0x1
	v_add_f64_e32 v[10:11], v[24:25], v[10:11]
	v_add_f64_e32 v[10:11], v[10:11], v[12:13]
	s_wait_dscnt 0x0
	s_delay_alu instid0(VALU_DEP_1)
	v_add_f64_e32 v[12:13], v[10:11], v[26:27]
.LBB3_15:                               ;   in Loop: Header=BB3_6 Depth=1
	s_or_b32 exec_lo, exec_lo, s11
	s_delay_alu instid0(SALU_CYCLE_1)
	s_and_b32 vcc_lo, exec_lo, s10
	s_cbranch_vccnz .LBB3_18
.LBB3_16:                               ;   in Loop: Header=BB3_6 Depth=1
	s_delay_alu instid0(VALU_DEP_1)
	v_mov_b64_e32 v[8:9], v[12:13]
	s_and_saveexec_b32 s10, s7
	s_cbranch_execnz .LBB3_19
	s_branch .LBB3_20
.LBB3_17:                               ;   in Loop: Header=BB3_6 Depth=1
	s_mov_b32 s7, 0
                                        ; implicit-def: $vgpr12_vgpr13
	s_cbranch_execz .LBB3_16
.LBB3_18:                               ;   in Loop: Header=BB3_6 Depth=1
	s_and_not1_b32 s7, s7, exec_lo
	s_and_b32 s10, s0, exec_lo
	s_delay_alu instid0(SALU_CYCLE_1) | instskip(NEXT) | instid1(SALU_CYCLE_1)
	s_or_b32 s7, s7, s10
	s_and_saveexec_b32 s10, s7
.LBB3_19:                               ;   in Loop: Header=BB3_6 Depth=1
	ds_store_b64 v3, v[8:9] offset:16384
.LBB3_20:                               ;   in Loop: Header=BB3_6 Depth=1
	s_or_b32 exec_lo, exec_lo, s10
	s_wait_dscnt 0x0
	s_barrier_signal -1
	s_barrier_wait -1
	s_and_saveexec_b32 s7, s2
	s_cbranch_execz .LBB3_5
; %bb.21:                               ;   in Loop: Header=BB3_6 Depth=1
	global_load_b64 v[8:9], v3, s[4:5]
	ds_load_b64 v[10:11], v3 offset:16384
	s_mov_b32 s10, 0
	s_wait_loadcnt_dscnt 0x0
	v_dual_mul_f64 v[8:9], v[10:11], -v[8:9] :: v_dual_mov_b32 v11, v0
	v_mov_b32_e32 v10, v2
.LBB3_22:                               ;   Parent Loop BB3_6 Depth=1
                                        ; =>  This Inner Loop Header: Depth=2
	global_load_b64 v[12:13], v[6:7], off
	ds_load_b64 v[24:25], v10
	v_add_nc_u32_e32 v11, 0x200, v11
	v_add_nc_u32_e32 v10, 0x1000, v10
	s_delay_alu instid0(VALU_DEP_2)
	v_cmp_le_i32_e32 vcc_lo, s12, v11
	s_or_b32 s10, vcc_lo, s10
	s_wait_loadcnt_dscnt 0x0
	v_fmac_f64_e32 v[12:13], v[8:9], v[24:25]
	global_store_b64 v[6:7], v[12:13], off
	s_wait_xcnt 0x0
	v_add_nc_u64_e32 v[6:7], 0x1000, v[6:7]
	s_and_not1_b32 exec_lo, exec_lo, s10
	s_cbranch_execnz .LBB3_22
	s_branch .LBB3_5
.LBB3_23:
	s_endpgm
	.section	.rodata,"a",@progbits
	.p2align	6, 0x0
	.amdhsa_kernel _ZN9rocsolver6v33100L22larf_left_kernel_smallILi512EdiPdEEvT1_S3_T2_lS3_lPKT0_lS4_lS3_l
		.amdhsa_group_segment_fixed_size 20480
		.amdhsa_private_segment_fixed_size 0
		.amdhsa_kernarg_size 88
		.amdhsa_user_sgpr_count 2
		.amdhsa_user_sgpr_dispatch_ptr 0
		.amdhsa_user_sgpr_queue_ptr 0
		.amdhsa_user_sgpr_kernarg_segment_ptr 1
		.amdhsa_user_sgpr_dispatch_id 0
		.amdhsa_user_sgpr_kernarg_preload_length 0
		.amdhsa_user_sgpr_kernarg_preload_offset 0
		.amdhsa_user_sgpr_private_segment_size 0
		.amdhsa_wavefront_size32 1
		.amdhsa_uses_dynamic_stack 0
		.amdhsa_enable_private_segment 0
		.amdhsa_system_sgpr_workgroup_id_x 1
		.amdhsa_system_sgpr_workgroup_id_y 1
		.amdhsa_system_sgpr_workgroup_id_z 0
		.amdhsa_system_sgpr_workgroup_info 0
		.amdhsa_system_vgpr_workitem_id 0
		.amdhsa_next_free_vgpr 32
		.amdhsa_next_free_sgpr 26
		.amdhsa_named_barrier_count 0
		.amdhsa_reserve_vcc 1
		.amdhsa_float_round_mode_32 0
		.amdhsa_float_round_mode_16_64 0
		.amdhsa_float_denorm_mode_32 3
		.amdhsa_float_denorm_mode_16_64 3
		.amdhsa_fp16_overflow 0
		.amdhsa_memory_ordered 1
		.amdhsa_forward_progress 1
		.amdhsa_inst_pref_size 11
		.amdhsa_round_robin_scheduling 0
		.amdhsa_exception_fp_ieee_invalid_op 0
		.amdhsa_exception_fp_denorm_src 0
		.amdhsa_exception_fp_ieee_div_zero 0
		.amdhsa_exception_fp_ieee_overflow 0
		.amdhsa_exception_fp_ieee_underflow 0
		.amdhsa_exception_fp_ieee_inexact 0
		.amdhsa_exception_int_div_zero 0
	.end_amdhsa_kernel
	.section	.text._ZN9rocsolver6v33100L22larf_left_kernel_smallILi512EdiPdEEvT1_S3_T2_lS3_lPKT0_lS4_lS3_l,"axG",@progbits,_ZN9rocsolver6v33100L22larf_left_kernel_smallILi512EdiPdEEvT1_S3_T2_lS3_lPKT0_lS4_lS3_l,comdat
.Lfunc_end3:
	.size	_ZN9rocsolver6v33100L22larf_left_kernel_smallILi512EdiPdEEvT1_S3_T2_lS3_lPKT0_lS4_lS3_l, .Lfunc_end3-_ZN9rocsolver6v33100L22larf_left_kernel_smallILi512EdiPdEEvT1_S3_T2_lS3_lPKT0_lS4_lS3_l
                                        ; -- End function
	.set _ZN9rocsolver6v33100L22larf_left_kernel_smallILi512EdiPdEEvT1_S3_T2_lS3_lPKT0_lS4_lS3_l.num_vgpr, 32
	.set _ZN9rocsolver6v33100L22larf_left_kernel_smallILi512EdiPdEEvT1_S3_T2_lS3_lPKT0_lS4_lS3_l.num_agpr, 0
	.set _ZN9rocsolver6v33100L22larf_left_kernel_smallILi512EdiPdEEvT1_S3_T2_lS3_lPKT0_lS4_lS3_l.numbered_sgpr, 26
	.set _ZN9rocsolver6v33100L22larf_left_kernel_smallILi512EdiPdEEvT1_S3_T2_lS3_lPKT0_lS4_lS3_l.num_named_barrier, 0
	.set _ZN9rocsolver6v33100L22larf_left_kernel_smallILi512EdiPdEEvT1_S3_T2_lS3_lPKT0_lS4_lS3_l.private_seg_size, 0
	.set _ZN9rocsolver6v33100L22larf_left_kernel_smallILi512EdiPdEEvT1_S3_T2_lS3_lPKT0_lS4_lS3_l.uses_vcc, 1
	.set _ZN9rocsolver6v33100L22larf_left_kernel_smallILi512EdiPdEEvT1_S3_T2_lS3_lPKT0_lS4_lS3_l.uses_flat_scratch, 0
	.set _ZN9rocsolver6v33100L22larf_left_kernel_smallILi512EdiPdEEvT1_S3_T2_lS3_lPKT0_lS4_lS3_l.has_dyn_sized_stack, 0
	.set _ZN9rocsolver6v33100L22larf_left_kernel_smallILi512EdiPdEEvT1_S3_T2_lS3_lPKT0_lS4_lS3_l.has_recursion, 0
	.set _ZN9rocsolver6v33100L22larf_left_kernel_smallILi512EdiPdEEvT1_S3_T2_lS3_lPKT0_lS4_lS3_l.has_indirect_call, 0
	.section	.AMDGPU.csdata,"",@progbits
; Kernel info:
; codeLenInByte = 1352
; TotalNumSgprs: 28
; NumVgprs: 32
; ScratchSize: 0
; MemoryBound: 0
; FloatMode: 240
; IeeeMode: 1
; LDSByteSize: 20480 bytes/workgroup (compile time only)
; SGPRBlocks: 0
; VGPRBlocks: 1
; NumSGPRsForWavesPerEU: 28
; NumVGPRsForWavesPerEU: 32
; NamedBarCnt: 0
; Occupancy: 16
; WaveLimiterHint : 0
; COMPUTE_PGM_RSRC2:SCRATCH_EN: 0
; COMPUTE_PGM_RSRC2:USER_SGPR: 2
; COMPUTE_PGM_RSRC2:TRAP_HANDLER: 0
; COMPUTE_PGM_RSRC2:TGID_X_EN: 1
; COMPUTE_PGM_RSRC2:TGID_Y_EN: 1
; COMPUTE_PGM_RSRC2:TGID_Z_EN: 0
; COMPUTE_PGM_RSRC2:TIDIG_COMP_CNT: 0
	.section	.text._ZN9rocsolver6v33100L22larf_left_kernel_smallILi1024EdiPdEEvT1_S3_T2_lS3_lPKT0_lS4_lS3_l,"axG",@progbits,_ZN9rocsolver6v33100L22larf_left_kernel_smallILi1024EdiPdEEvT1_S3_T2_lS3_lPKT0_lS4_lS3_l,comdat
	.globl	_ZN9rocsolver6v33100L22larf_left_kernel_smallILi1024EdiPdEEvT1_S3_T2_lS3_lPKT0_lS4_lS3_l ; -- Begin function _ZN9rocsolver6v33100L22larf_left_kernel_smallILi1024EdiPdEEvT1_S3_T2_lS3_lPKT0_lS4_lS3_l
	.p2align	8
	.type	_ZN9rocsolver6v33100L22larf_left_kernel_smallILi1024EdiPdEEvT1_S3_T2_lS3_lPKT0_lS4_lS3_l,@function
_ZN9rocsolver6v33100L22larf_left_kernel_smallILi1024EdiPdEEvT1_S3_T2_lS3_lPKT0_lS4_lS3_l: ; @_ZN9rocsolver6v33100L22larf_left_kernel_smallILi1024EdiPdEEvT1_S3_T2_lS3_lPKT0_lS4_lS3_l
; %bb.0:
	s_clause 0x2
	s_load_b64 s[12:13], s[0:1], 0x0
	s_load_b256 s[4:11], s[0:1], 0x20
	s_load_b64 s[14:15], s[0:1], 0x40
	s_bfe_u32 s2, ttmp6, 0x4000c
	s_and_b32 s16, ttmp6, 15
	s_add_co_i32 s2, s2, 1
	s_getreg_b32 s3, hwreg(HW_REG_IB_STS2, 6, 4)
	s_mul_i32 s2, ttmp9, s2
	v_lshlrev_b32_e32 v2, 3, v0
	s_add_co_i32 s16, s16, s2
	s_cmp_eq_u32 s3, 0
	s_mov_b32 s18, 0
	s_cselect_b32 s16, ttmp9, s16
	s_delay_alu instid0(SALU_CYCLE_1)
	s_ashr_i32 s17, s16, 31
	s_wait_kmcnt 0x0
	v_cmp_gt_i32_e64 s2, s12, v0
	s_and_saveexec_b32 s19, s2
	s_cbranch_execz .LBB4_3
; %bb.1:
	s_clause 0x1
	s_load_b128 s[20:23], s[0:1], 0x8
	s_load_b32 s24, s[0:1], 0x18
	s_mul_u64 s[4:5], s[4:5], s[16:17]
	s_sub_co_i32 s25, 1, s12
	s_lshl_b64 s[4:5], s[4:5], 3
	v_dual_mov_b32 v4, v0 :: v_dual_lshlrev_b32 v3, 3, v0
	s_wait_kmcnt 0x0
	s_lshl_b64 s[22:23], s[22:23], 3
	s_mul_i32 s25, s24, s25
	s_cmp_lt_i32 s24, 1
	s_add_nc_u64 s[4:5], s[20:21], s[4:5]
	s_cselect_b32 s25, s25, 0
	s_add_nc_u64 s[4:5], s[4:5], s[22:23]
	v_mad_u32 v1, v0, s24, s25
	s_lshl_b32 s20, s24, 10
.LBB4_2:                                ; =>This Inner Loop Header: Depth=1
	global_load_b64 v[6:7], v1, s[4:5] scale_offset
	v_add_nc_u32_e32 v4, 0x400, v4
	s_wait_xcnt 0x0
	v_add_nc_u32_e32 v1, s20, v1
	s_delay_alu instid0(VALU_DEP_2)
	v_cmp_le_i32_e32 vcc_lo, s12, v4
	s_or_b32 s18, vcc_lo, s18
	s_wait_loadcnt 0x0
	ds_store_b64 v3, v[6:7]
	v_add_nc_u32_e32 v3, 0x2000, v3
	s_and_not1_b32 exec_lo, exec_lo, s18
	s_cbranch_execnz .LBB4_2
.LBB4_3:
	s_or_b32 exec_lo, exec_lo, s19
	s_bfe_u32 s4, ttmp6, 0x40010
	s_bfe_u32 s5, ttmp6, 0x40004
	s_add_co_i32 s4, s4, 1
	s_wait_dscnt 0x0
	s_mul_i32 s4, ttmp7, s4
	s_barrier_signal -1
	s_add_co_i32 s5, s5, s4
	s_cmp_eq_u32 s3, 0
	s_barrier_wait -1
	s_cselect_b32 s3, ttmp7, s5
	s_delay_alu instid0(SALU_CYCLE_1)
	s_cmp_ge_i32 s3, s13
	s_cbranch_scc1 .LBB4_23
; %bb.4:
	s_clause 0x1
	s_load_b64 s[4:5], s[0:1], 0x50
	s_load_b32 s20, s[0:1], 0x48
	s_mul_u64 s[8:9], s[8:9], s[16:17]
	v_dual_lshrrev_b32 v1, 2, v0 :: v_dual_bitop2_b32 v4, 31, v0 bitop3:0x40
	s_lshl_b64 s[18:19], s[8:9], 3
	s_cmp_gt_i32 s12, 1
	v_dual_mov_b32 v3, 0 :: v_dual_mov_b32 v16, 0x4018
	s_cselect_b32 s8, -1, 0
	s_lshl_b64 s[14:15], s[14:15], 3
	v_mbcnt_lo_u32_b32 v14, -1, 0
	s_wait_xcnt 0x0
	v_cmp_eq_u32_e64 s1, 0, v4
	v_cmp_eq_u32_e64 s0, 0, v0
	v_mov_b32_e32 v15, 0x4008
	v_mov_b32_e32 v17, 0x4028
	;; [unrolled: 1-line block ×6, first 2 shown]
	s_wait_kmcnt 0x0
	s_mul_u64 s[4:5], s[4:5], s[16:17]
	v_mov_b32_e32 v22, 0x4078
	s_lshl_b64 s[4:5], s[4:5], 3
	v_mov_b32_e32 v23, 0x4088
	s_add_nc_u64 s[4:5], s[4:5], s[14:15]
	v_mov_b32_e32 v24, 0x4098
	s_add_nc_u64 s[4:5], s[10:11], s[4:5]
	v_lshl_or_b32 v25, v14, 2, 64
	v_add_nc_u64_e32 v[4:5], s[4:5], v[2:3]
	v_mov_b32_e32 v26, 0x40a8
	v_mov_b32_e32 v27, 0x40b8
	;; [unrolled: 1-line block ×5, first 2 shown]
	s_add_nc_u64 s[4:5], s[6:7], s[18:19]
	s_mul_i32 s6, s3, s20
	s_lshl_b32 s9, s20, 6
	s_branch .LBB4_6
.LBB4_5:                                ;   in Loop: Header=BB4_6 Depth=1
	s_or_b32 exec_lo, exec_lo, s7
	s_add_co_i32 s3, s3, 64
	s_add_co_i32 s6, s6, s9
	s_cmp_ge_i32 s3, s13
	s_cbranch_scc1 .LBB4_23
.LBB4_6:                                ; =>This Loop Header: Depth=1
                                        ;     Child Loop BB4_8 Depth 2
                                        ;     Child Loop BB4_22 Depth 2
	s_ashr_i32 s7, s6, 31
	v_mov_b64_e32 v[8:9], 0
	v_lshl_add_u64 v[6:7], s[6:7], 3, v[4:5]
	s_and_saveexec_b32 s7, s2
	s_cbranch_execz .LBB4_10
; %bb.7:                                ;   in Loop: Header=BB4_6 Depth=1
	v_mov_b64_e32 v[8:9], 0
	s_delay_alu instid0(VALU_DEP_2)
	v_mov_b64_e32 v[10:11], v[6:7]
	v_dual_mov_b32 v12, v2 :: v_dual_mov_b32 v13, v0
	s_mov_b32 s10, 0
.LBB4_8:                                ;   Parent Loop BB4_6 Depth=1
                                        ; =>  This Inner Loop Header: Depth=2
	global_load_b64 v[32:33], v[10:11], off
	ds_load_b64 v[34:35], v12
	v_add_nc_u32_e32 v13, 0x400, v13
	s_wait_xcnt 0x0
	v_add_nc_u64_e32 v[10:11], 0x2000, v[10:11]
	v_add_nc_u32_e32 v12, 0x2000, v12
	s_delay_alu instid0(VALU_DEP_3)
	v_cmp_le_i32_e32 vcc_lo, s12, v13
	s_or_b32 s10, vcc_lo, s10
	s_wait_loadcnt_dscnt 0x0
	v_fmac_f64_e32 v[8:9], v[34:35], v[32:33]
	s_and_not1_b32 exec_lo, exec_lo, s10
	s_cbranch_execnz .LBB4_8
; %bb.9:                                ;   in Loop: Header=BB4_6 Depth=1
	s_or_b32 exec_lo, exec_lo, s10
.LBB4_10:                               ;   in Loop: Header=BB4_6 Depth=1
	s_delay_alu instid0(SALU_CYCLE_1) | instskip(NEXT) | instid1(SALU_CYCLE_1)
	s_or_b32 exec_lo, exec_lo, s7
	s_and_b32 vcc_lo, exec_lo, s8
	s_cbranch_vccz .LBB4_17
; %bb.11:                               ;   in Loop: Header=BB4_6 Depth=1
	v_cmp_ne_u32_e32 vcc_lo, 31, v14
	v_add_co_ci_u32_e64 v10, null, 0, v14, vcc_lo
	v_cmp_gt_u32_e32 vcc_lo, 30, v14
	s_delay_alu instid0(VALU_DEP_2)
	v_lshlrev_b32_e32 v11, 2, v10
	v_cndmask_b32_e64 v12, 0, 2, vcc_lo
	v_cmp_gt_u32_e32 vcc_lo, 28, v14
	ds_bpermute_b32 v10, v11, v8
	ds_bpermute_b32 v11, v11, v9
	v_add_lshl_u32 v13, v12, v14, 2
	s_wait_dscnt 0x0
	v_add_f64_e32 v[10:11], v[8:9], v[10:11]
	ds_bpermute_b32 v12, v13, v10
	ds_bpermute_b32 v13, v13, v11
	s_wait_dscnt 0x0
	v_add_f64_e32 v[10:11], v[10:11], v[12:13]
	v_cndmask_b32_e64 v12, 0, 4, vcc_lo
	v_cmp_gt_u32_e32 vcc_lo, 24, v14
	s_delay_alu instid0(VALU_DEP_2)
	v_add_lshl_u32 v13, v12, v14, 2
	ds_bpermute_b32 v12, v13, v10
	ds_bpermute_b32 v13, v13, v11
	s_wait_dscnt 0x0
	v_add_f64_e32 v[10:11], v[10:11], v[12:13]
	v_cndmask_b32_e64 v12, 0, 8, vcc_lo
	s_delay_alu instid0(VALU_DEP_1)
	v_add_lshl_u32 v13, v12, v14, 2
	ds_bpermute_b32 v12, v13, v10
	ds_bpermute_b32 v13, v13, v11
	s_wait_dscnt 0x0
	v_add_f64_e32 v[10:11], v[10:11], v[12:13]
	ds_bpermute_b32 v12, v25, v10
	ds_bpermute_b32 v13, v25, v11
	s_wait_dscnt 0x0
	v_add_f64_e32 v[10:11], v[10:11], v[12:13]
	s_and_saveexec_b32 s7, s1
; %bb.12:                               ;   in Loop: Header=BB4_6 Depth=1
	ds_store_b64 v1, v[10:11] offset:16384
; %bb.13:                               ;   in Loop: Header=BB4_6 Depth=1
	s_or_b32 exec_lo, exec_lo, s7
	s_mov_b32 s10, 0
	s_mov_b32 s7, 0
	s_wait_dscnt 0x0
	s_barrier_signal -1
	s_barrier_wait -1
                                        ; implicit-def: $vgpr12_vgpr13
	s_and_saveexec_b32 s11, s0
	s_delay_alu instid0(SALU_CYCLE_1)
	s_xor_b32 s11, exec_lo, s11
	s_cbranch_execz .LBB4_15
; %bb.14:                               ;   in Loop: Header=BB4_6 Depth=1
	ds_load_2addr_b64 v[32:35], v15 offset1:1
	ds_load_2addr_b64 v[36:39], v16 offset1:1
	s_mov_b32 s7, exec_lo
	s_wait_dscnt 0x1
	v_add_f64_e32 v[10:11], v[10:11], v[32:33]
	s_delay_alu instid0(VALU_DEP_1) | instskip(SKIP_1) | instid1(VALU_DEP_1)
	v_add_f64_e32 v[10:11], v[10:11], v[34:35]
	s_wait_dscnt 0x0
	v_add_f64_e32 v[10:11], v[10:11], v[36:37]
	s_delay_alu instid0(VALU_DEP_1) | instskip(SKIP_4) | instid1(VALU_DEP_1)
	v_add_f64_e32 v[36:37], v[10:11], v[38:39]
	ds_load_2addr_b64 v[10:13], v17 offset1:1
	ds_load_2addr_b64 v[32:35], v18 offset1:1
	s_wait_dscnt 0x1
	v_add_f64_e32 v[10:11], v[36:37], v[10:11]
	v_add_f64_e32 v[10:11], v[10:11], v[12:13]
	s_wait_dscnt 0x0
	s_delay_alu instid0(VALU_DEP_1) | instskip(NEXT) | instid1(VALU_DEP_1)
	v_add_f64_e32 v[10:11], v[10:11], v[32:33]
	v_add_f64_e32 v[36:37], v[10:11], v[34:35]
	ds_load_2addr_b64 v[10:13], v19 offset1:1
	ds_load_2addr_b64 v[32:35], v20 offset1:1
	s_wait_dscnt 0x1
	v_add_f64_e32 v[10:11], v[36:37], v[10:11]
	s_delay_alu instid0(VALU_DEP_1) | instskip(SKIP_1) | instid1(VALU_DEP_1)
	v_add_f64_e32 v[10:11], v[10:11], v[12:13]
	s_wait_dscnt 0x0
	v_add_f64_e32 v[10:11], v[10:11], v[32:33]
	s_delay_alu instid0(VALU_DEP_1) | instskip(SKIP_4) | instid1(VALU_DEP_1)
	v_add_f64_e32 v[36:37], v[10:11], v[34:35]
	ds_load_2addr_b64 v[10:13], v21 offset1:1
	ds_load_2addr_b64 v[32:35], v22 offset1:1
	s_wait_dscnt 0x1
	v_add_f64_e32 v[10:11], v[36:37], v[10:11]
	v_add_f64_e32 v[10:11], v[10:11], v[12:13]
	s_wait_dscnt 0x0
	s_delay_alu instid0(VALU_DEP_1) | instskip(NEXT) | instid1(VALU_DEP_1)
	v_add_f64_e32 v[10:11], v[10:11], v[32:33]
	v_add_f64_e32 v[36:37], v[10:11], v[34:35]
	ds_load_2addr_b64 v[10:13], v23 offset1:1
	ds_load_2addr_b64 v[32:35], v24 offset1:1
	;; [unrolled: 19-line block ×3, first 2 shown]
	s_wait_dscnt 0x1
	v_add_f64_e32 v[10:11], v[36:37], v[10:11]
	s_delay_alu instid0(VALU_DEP_1) | instskip(SKIP_1) | instid1(VALU_DEP_1)
	v_add_f64_e32 v[10:11], v[10:11], v[12:13]
	s_wait_dscnt 0x0
	v_add_f64_e32 v[10:11], v[10:11], v[32:33]
	s_delay_alu instid0(VALU_DEP_1) | instskip(SKIP_4) | instid1(VALU_DEP_1)
	v_add_f64_e32 v[32:33], v[10:11], v[34:35]
	ds_load_2addr_b64 v[10:13], v30 offset1:1
	ds_load_b64 v[34:35], v3 offset:16632
	s_wait_dscnt 0x1
	v_add_f64_e32 v[10:11], v[32:33], v[10:11]
	v_add_f64_e32 v[10:11], v[10:11], v[12:13]
	s_wait_dscnt 0x0
	s_delay_alu instid0(VALU_DEP_1)
	v_add_f64_e32 v[12:13], v[10:11], v[34:35]
.LBB4_15:                               ;   in Loop: Header=BB4_6 Depth=1
	s_or_b32 exec_lo, exec_lo, s11
	s_delay_alu instid0(SALU_CYCLE_1)
	s_and_b32 vcc_lo, exec_lo, s10
	s_cbranch_vccnz .LBB4_18
.LBB4_16:                               ;   in Loop: Header=BB4_6 Depth=1
	s_delay_alu instid0(VALU_DEP_1)
	v_mov_b64_e32 v[8:9], v[12:13]
	s_and_saveexec_b32 s10, s7
	s_cbranch_execnz .LBB4_19
	s_branch .LBB4_20
.LBB4_17:                               ;   in Loop: Header=BB4_6 Depth=1
	s_mov_b32 s7, 0
                                        ; implicit-def: $vgpr12_vgpr13
	s_cbranch_execz .LBB4_16
.LBB4_18:                               ;   in Loop: Header=BB4_6 Depth=1
	s_and_not1_b32 s7, s7, exec_lo
	s_and_b32 s10, s0, exec_lo
	s_delay_alu instid0(SALU_CYCLE_1) | instskip(NEXT) | instid1(SALU_CYCLE_1)
	s_or_b32 s7, s7, s10
	s_and_saveexec_b32 s10, s7
.LBB4_19:                               ;   in Loop: Header=BB4_6 Depth=1
	ds_store_b64 v3, v[8:9] offset:16384
.LBB4_20:                               ;   in Loop: Header=BB4_6 Depth=1
	s_or_b32 exec_lo, exec_lo, s10
	s_wait_dscnt 0x0
	s_barrier_signal -1
	s_barrier_wait -1
	s_and_saveexec_b32 s7, s2
	s_cbranch_execz .LBB4_5
; %bb.21:                               ;   in Loop: Header=BB4_6 Depth=1
	global_load_b64 v[8:9], v3, s[4:5]
	ds_load_b64 v[10:11], v3 offset:16384
	s_mov_b32 s10, 0
	s_wait_loadcnt_dscnt 0x0
	v_dual_mul_f64 v[8:9], v[10:11], -v[8:9] :: v_dual_mov_b32 v11, v0
	v_mov_b32_e32 v10, v2
.LBB4_22:                               ;   Parent Loop BB4_6 Depth=1
                                        ; =>  This Inner Loop Header: Depth=2
	global_load_b64 v[12:13], v[6:7], off
	ds_load_b64 v[32:33], v10
	v_add_nc_u32_e32 v11, 0x400, v11
	v_add_nc_u32_e32 v10, 0x2000, v10
	s_delay_alu instid0(VALU_DEP_2)
	v_cmp_le_i32_e32 vcc_lo, s12, v11
	s_or_b32 s10, vcc_lo, s10
	s_wait_loadcnt_dscnt 0x0
	v_fmac_f64_e32 v[12:13], v[8:9], v[32:33]
	global_store_b64 v[6:7], v[12:13], off
	s_wait_xcnt 0x0
	v_add_nc_u64_e32 v[6:7], 0x2000, v[6:7]
	s_and_not1_b32 exec_lo, exec_lo, s10
	s_cbranch_execnz .LBB4_22
	s_branch .LBB4_5
.LBB4_23:
	s_endpgm
	.section	.rodata,"a",@progbits
	.p2align	6, 0x0
	.amdhsa_kernel _ZN9rocsolver6v33100L22larf_left_kernel_smallILi1024EdiPdEEvT1_S3_T2_lS3_lPKT0_lS4_lS3_l
		.amdhsa_group_segment_fixed_size 24576
		.amdhsa_private_segment_fixed_size 0
		.amdhsa_kernarg_size 88
		.amdhsa_user_sgpr_count 2
		.amdhsa_user_sgpr_dispatch_ptr 0
		.amdhsa_user_sgpr_queue_ptr 0
		.amdhsa_user_sgpr_kernarg_segment_ptr 1
		.amdhsa_user_sgpr_dispatch_id 0
		.amdhsa_user_sgpr_kernarg_preload_length 0
		.amdhsa_user_sgpr_kernarg_preload_offset 0
		.amdhsa_user_sgpr_private_segment_size 0
		.amdhsa_wavefront_size32 1
		.amdhsa_uses_dynamic_stack 0
		.amdhsa_enable_private_segment 0
		.amdhsa_system_sgpr_workgroup_id_x 1
		.amdhsa_system_sgpr_workgroup_id_y 1
		.amdhsa_system_sgpr_workgroup_id_z 0
		.amdhsa_system_sgpr_workgroup_info 0
		.amdhsa_system_vgpr_workitem_id 0
		.amdhsa_next_free_vgpr 40
		.amdhsa_next_free_sgpr 26
		.amdhsa_named_barrier_count 0
		.amdhsa_reserve_vcc 1
		.amdhsa_float_round_mode_32 0
		.amdhsa_float_round_mode_16_64 0
		.amdhsa_float_denorm_mode_32 3
		.amdhsa_float_denorm_mode_16_64 3
		.amdhsa_fp16_overflow 0
		.amdhsa_memory_ordered 1
		.amdhsa_forward_progress 1
		.amdhsa_inst_pref_size 13
		.amdhsa_round_robin_scheduling 0
		.amdhsa_exception_fp_ieee_invalid_op 0
		.amdhsa_exception_fp_denorm_src 0
		.amdhsa_exception_fp_ieee_div_zero 0
		.amdhsa_exception_fp_ieee_overflow 0
		.amdhsa_exception_fp_ieee_underflow 0
		.amdhsa_exception_fp_ieee_inexact 0
		.amdhsa_exception_int_div_zero 0
	.end_amdhsa_kernel
	.section	.text._ZN9rocsolver6v33100L22larf_left_kernel_smallILi1024EdiPdEEvT1_S3_T2_lS3_lPKT0_lS4_lS3_l,"axG",@progbits,_ZN9rocsolver6v33100L22larf_left_kernel_smallILi1024EdiPdEEvT1_S3_T2_lS3_lPKT0_lS4_lS3_l,comdat
.Lfunc_end4:
	.size	_ZN9rocsolver6v33100L22larf_left_kernel_smallILi1024EdiPdEEvT1_S3_T2_lS3_lPKT0_lS4_lS3_l, .Lfunc_end4-_ZN9rocsolver6v33100L22larf_left_kernel_smallILi1024EdiPdEEvT1_S3_T2_lS3_lPKT0_lS4_lS3_l
                                        ; -- End function
	.set _ZN9rocsolver6v33100L22larf_left_kernel_smallILi1024EdiPdEEvT1_S3_T2_lS3_lPKT0_lS4_lS3_l.num_vgpr, 40
	.set _ZN9rocsolver6v33100L22larf_left_kernel_smallILi1024EdiPdEEvT1_S3_T2_lS3_lPKT0_lS4_lS3_l.num_agpr, 0
	.set _ZN9rocsolver6v33100L22larf_left_kernel_smallILi1024EdiPdEEvT1_S3_T2_lS3_lPKT0_lS4_lS3_l.numbered_sgpr, 26
	.set _ZN9rocsolver6v33100L22larf_left_kernel_smallILi1024EdiPdEEvT1_S3_T2_lS3_lPKT0_lS4_lS3_l.num_named_barrier, 0
	.set _ZN9rocsolver6v33100L22larf_left_kernel_smallILi1024EdiPdEEvT1_S3_T2_lS3_lPKT0_lS4_lS3_l.private_seg_size, 0
	.set _ZN9rocsolver6v33100L22larf_left_kernel_smallILi1024EdiPdEEvT1_S3_T2_lS3_lPKT0_lS4_lS3_l.uses_vcc, 1
	.set _ZN9rocsolver6v33100L22larf_left_kernel_smallILi1024EdiPdEEvT1_S3_T2_lS3_lPKT0_lS4_lS3_l.uses_flat_scratch, 0
	.set _ZN9rocsolver6v33100L22larf_left_kernel_smallILi1024EdiPdEEvT1_S3_T2_lS3_lPKT0_lS4_lS3_l.has_dyn_sized_stack, 0
	.set _ZN9rocsolver6v33100L22larf_left_kernel_smallILi1024EdiPdEEvT1_S3_T2_lS3_lPKT0_lS4_lS3_l.has_recursion, 0
	.set _ZN9rocsolver6v33100L22larf_left_kernel_smallILi1024EdiPdEEvT1_S3_T2_lS3_lPKT0_lS4_lS3_l.has_indirect_call, 0
	.section	.AMDGPU.csdata,"",@progbits
; Kernel info:
; codeLenInByte = 1592
; TotalNumSgprs: 28
; NumVgprs: 40
; ScratchSize: 0
; MemoryBound: 0
; FloatMode: 240
; IeeeMode: 1
; LDSByteSize: 24576 bytes/workgroup (compile time only)
; SGPRBlocks: 0
; VGPRBlocks: 2
; NumSGPRsForWavesPerEU: 28
; NumVGPRsForWavesPerEU: 40
; NamedBarCnt: 0
; Occupancy: 16
; WaveLimiterHint : 0
; COMPUTE_PGM_RSRC2:SCRATCH_EN: 0
; COMPUTE_PGM_RSRC2:USER_SGPR: 2
; COMPUTE_PGM_RSRC2:TRAP_HANDLER: 0
; COMPUTE_PGM_RSRC2:TGID_X_EN: 1
; COMPUTE_PGM_RSRC2:TGID_Y_EN: 1
; COMPUTE_PGM_RSRC2:TGID_Z_EN: 0
; COMPUTE_PGM_RSRC2:TIDIG_COMP_CNT: 0
	.section	.text._ZN9rocsolver6v33100L23larf_right_kernel_smallILi64EdiPdEEvT1_S3_T2_lS3_lPKT0_lS4_lS3_l,"axG",@progbits,_ZN9rocsolver6v33100L23larf_right_kernel_smallILi64EdiPdEEvT1_S3_T2_lS3_lPKT0_lS4_lS3_l,comdat
	.globl	_ZN9rocsolver6v33100L23larf_right_kernel_smallILi64EdiPdEEvT1_S3_T2_lS3_lPKT0_lS4_lS3_l ; -- Begin function _ZN9rocsolver6v33100L23larf_right_kernel_smallILi64EdiPdEEvT1_S3_T2_lS3_lPKT0_lS4_lS3_l
	.p2align	8
	.type	_ZN9rocsolver6v33100L23larf_right_kernel_smallILi64EdiPdEEvT1_S3_T2_lS3_lPKT0_lS4_lS3_l,@function
_ZN9rocsolver6v33100L23larf_right_kernel_smallILi64EdiPdEEvT1_S3_T2_lS3_lPKT0_lS4_lS3_l: ; @_ZN9rocsolver6v33100L23larf_right_kernel_smallILi64EdiPdEEvT1_S3_T2_lS3_lPKT0_lS4_lS3_l
; %bb.0:
	s_clause 0x2
	s_load_b64 s[12:13], s[0:1], 0x0
	s_load_b256 s[4:11], s[0:1], 0x20
	s_load_b64 s[14:15], s[0:1], 0x40
	s_bfe_u32 s2, ttmp6, 0x4000c
	s_and_b32 s16, ttmp6, 15
	s_add_co_i32 s2, s2, 1
	s_getreg_b32 s3, hwreg(HW_REG_IB_STS2, 6, 4)
	s_mul_i32 s2, ttmp9, s2
	v_lshlrev_b32_e32 v1, 3, v0
	s_add_co_i32 s16, s16, s2
	s_cmp_eq_u32 s3, 0
	s_mov_b32 s18, 0
	s_cselect_b32 s16, ttmp9, s16
	s_delay_alu instid0(SALU_CYCLE_1)
	s_ashr_i32 s17, s16, 31
	s_wait_kmcnt 0x0
	v_cmp_gt_i32_e64 s2, s13, v0
	s_and_saveexec_b32 s19, s2
	s_cbranch_execz .LBB5_3
; %bb.1:
	s_clause 0x1
	s_load_b128 s[20:23], s[0:1], 0x8
	s_load_b32 s24, s[0:1], 0x18
	s_mul_u64 s[4:5], s[4:5], s[16:17]
	s_sub_co_i32 s25, 1, s13
	s_lshl_b64 s[4:5], s[4:5], 3
	v_dual_mov_b32 v4, v0 :: v_dual_lshlrev_b32 v3, 3, v0
	s_wait_kmcnt 0x0
	s_lshl_b64 s[22:23], s[22:23], 3
	s_mul_i32 s25, s24, s25
	s_cmp_lt_i32 s24, 1
	s_add_nc_u64 s[4:5], s[20:21], s[4:5]
	s_cselect_b32 s25, s25, 0
	s_add_nc_u64 s[4:5], s[4:5], s[22:23]
	v_mad_u32 v2, v0, s24, s25
	s_lshl_b32 s20, s24, 6
.LBB5_2:                                ; =>This Inner Loop Header: Depth=1
	global_load_b64 v[6:7], v2, s[4:5] scale_offset
	s_wait_xcnt 0x0
	v_dual_add_nc_u32 v4, 64, v4 :: v_dual_add_nc_u32 v2, s20, v2
	s_delay_alu instid0(VALU_DEP_1)
	v_cmp_le_i32_e32 vcc_lo, s13, v4
	s_or_b32 s18, vcc_lo, s18
	s_wait_loadcnt 0x0
	ds_store_b64 v3, v[6:7]
	v_add_nc_u32_e32 v3, 0x200, v3
	s_and_not1_b32 exec_lo, exec_lo, s18
	s_cbranch_execnz .LBB5_2
.LBB5_3:
	s_or_b32 exec_lo, exec_lo, s19
	s_bfe_u32 s4, ttmp6, 0x40010
	s_bfe_u32 s5, ttmp6, 0x40004
	s_add_co_i32 s4, s4, 1
	s_wait_dscnt 0x0
	s_mul_i32 s4, ttmp7, s4
	s_barrier_signal -1
	s_add_co_i32 s5, s5, s4
	s_cmp_eq_u32 s3, 0
	s_barrier_wait -1
	s_cselect_b32 s4, ttmp7, s5
	s_delay_alu instid0(SALU_CYCLE_1)
	s_cmp_ge_i32 s4, s12
	s_cbranch_scc1 .LBB5_23
; %bb.4:
	s_clause 0x1
	s_load_b64 s[18:19], s[0:1], 0x50
	s_load_b32 s5, s[0:1], 0x48
	s_mul_u64 s[8:9], s[8:9], s[16:17]
	v_dual_lshrrev_b32 v8, 2, v0 :: v_dual_bitop2_b32 v2, 31, v0 bitop3:0x40
	v_mbcnt_lo_u32_b32 v9, -1, 0
	s_lshl_b64 s[20:21], s[8:9], 3
	s_lshl_b64 s[14:15], s[14:15], 3
	s_wait_xcnt 0x0
	v_cmp_eq_u32_e64 s0, 0, v0
	v_cmp_eq_u32_e64 s1, 0, v2
	v_lshl_or_b32 v11, v9, 2, 64
	v_mov_b32_e32 v12, 0
	s_add_nc_u64 s[6:7], s[6:7], s[20:21]
	s_wait_kmcnt 0x0
	s_mul_u64 s[8:9], s[18:19], s[16:17]
	v_mul_lo_u32 v10, v0, s5
	s_lshl_b64 s[8:9], s[8:9], 3
	s_cmp_gt_i32 s13, 1
	s_add_nc_u64 s[8:9], s[10:11], s[8:9]
	s_cselect_b32 s3, -1, 0
	s_add_nc_u64 s[8:9], s[8:9], s[14:15]
	s_lshl_b32 s14, s5, 6
	s_branch .LBB5_6
.LBB5_5:                                ;   in Loop: Header=BB5_6 Depth=1
	s_or_b32 exec_lo, exec_lo, s5
	s_add_co_i32 s4, s4, 64
	s_delay_alu instid0(SALU_CYCLE_1)
	s_cmp_ge_i32 s4, s12
	s_cbranch_scc1 .LBB5_23
.LBB5_6:                                ; =>This Loop Header: Depth=1
                                        ;     Child Loop BB5_8 Depth 2
                                        ;     Child Loop BB5_22 Depth 2
	v_mov_b64_e32 v[2:3], 0
	s_ashr_i32 s5, s4, 31
	s_delay_alu instid0(SALU_CYCLE_1) | instskip(NEXT) | instid1(SALU_CYCLE_1)
	s_lshl_b64 s[10:11], s[4:5], 3
	s_add_nc_u64 s[10:11], s[8:9], s[10:11]
	s_and_saveexec_b32 s5, s2
	s_cbranch_execz .LBB5_10
; %bb.7:                                ;   in Loop: Header=BB5_6 Depth=1
	v_mov_b64_e32 v[2:3], 0
	v_dual_mov_b32 v4, v10 :: v_dual_mov_b32 v5, v1
	v_mov_b32_e32 v6, v0
	s_mov_b32 s15, 0
.LBB5_8:                                ;   Parent Loop BB5_6 Depth=1
                                        ; =>  This Inner Loop Header: Depth=2
	global_load_b64 v[14:15], v4, s[10:11] scale_offset
	ds_load_b64 v[16:17], v5
	s_wait_xcnt 0x0
	v_dual_add_nc_u32 v6, 64, v6 :: v_dual_add_nc_u32 v4, s14, v4
	v_add_nc_u32_e32 v5, 0x200, v5
	s_delay_alu instid0(VALU_DEP_2)
	v_cmp_le_i32_e32 vcc_lo, s13, v6
	s_or_b32 s15, vcc_lo, s15
	s_wait_loadcnt_dscnt 0x0
	v_fmac_f64_e32 v[2:3], v[16:17], v[14:15]
	s_and_not1_b32 exec_lo, exec_lo, s15
	s_cbranch_execnz .LBB5_8
; %bb.9:                                ;   in Loop: Header=BB5_6 Depth=1
	s_or_b32 exec_lo, exec_lo, s15
.LBB5_10:                               ;   in Loop: Header=BB5_6 Depth=1
	s_delay_alu instid0(SALU_CYCLE_1) | instskip(NEXT) | instid1(SALU_CYCLE_1)
	s_or_b32 exec_lo, exec_lo, s5
	s_and_b32 vcc_lo, exec_lo, s3
	s_cbranch_vccz .LBB5_17
; %bb.11:                               ;   in Loop: Header=BB5_6 Depth=1
	v_cmp_ne_u32_e32 vcc_lo, 31, v9
	v_add_co_ci_u32_e64 v4, null, 0, v9, vcc_lo
	v_cmp_gt_u32_e32 vcc_lo, 30, v9
	s_delay_alu instid0(VALU_DEP_2)
	v_lshlrev_b32_e32 v5, 2, v4
	v_cndmask_b32_e64 v6, 0, 2, vcc_lo
	v_cmp_gt_u32_e32 vcc_lo, 28, v9
	ds_bpermute_b32 v4, v5, v2
	ds_bpermute_b32 v5, v5, v3
	v_add_lshl_u32 v7, v6, v9, 2
	s_wait_dscnt 0x0
	v_add_f64_e32 v[4:5], v[2:3], v[4:5]
	ds_bpermute_b32 v6, v7, v4
	ds_bpermute_b32 v7, v7, v5
	s_wait_dscnt 0x0
	v_add_f64_e32 v[4:5], v[4:5], v[6:7]
	v_cndmask_b32_e64 v6, 0, 4, vcc_lo
	v_cmp_gt_u32_e32 vcc_lo, 24, v9
	s_delay_alu instid0(VALU_DEP_2)
	v_add_lshl_u32 v7, v6, v9, 2
	ds_bpermute_b32 v6, v7, v4
	ds_bpermute_b32 v7, v7, v5
	s_wait_dscnt 0x0
	v_add_f64_e32 v[4:5], v[4:5], v[6:7]
	v_cndmask_b32_e64 v6, 0, 8, vcc_lo
	s_delay_alu instid0(VALU_DEP_1)
	v_add_lshl_u32 v7, v6, v9, 2
	ds_bpermute_b32 v6, v7, v4
	ds_bpermute_b32 v7, v7, v5
	s_wait_dscnt 0x0
	v_add_f64_e32 v[4:5], v[4:5], v[6:7]
	ds_bpermute_b32 v6, v11, v4
	ds_bpermute_b32 v7, v11, v5
	s_wait_dscnt 0x0
	v_add_f64_e32 v[6:7], v[4:5], v[6:7]
	s_and_saveexec_b32 s5, s1
; %bb.12:                               ;   in Loop: Header=BB5_6 Depth=1
	ds_store_b64 v8, v[6:7] offset:16384
; %bb.13:                               ;   in Loop: Header=BB5_6 Depth=1
	s_or_b32 exec_lo, exec_lo, s5
	s_mov_b32 s15, 0
	s_mov_b32 s5, 0
	s_wait_dscnt 0x0
	s_barrier_signal -1
	s_barrier_wait -1
                                        ; implicit-def: $vgpr4_vgpr5
	s_and_saveexec_b32 s16, s0
	s_delay_alu instid0(SALU_CYCLE_1)
	s_xor_b32 s16, exec_lo, s16
	s_cbranch_execz .LBB5_15
; %bb.14:                               ;   in Loop: Header=BB5_6 Depth=1
	ds_load_b64 v[4:5], v12 offset:16392
	s_mov_b32 s5, exec_lo
	s_wait_dscnt 0x0
	v_add_f64_e32 v[4:5], v[6:7], v[4:5]
.LBB5_15:                               ;   in Loop: Header=BB5_6 Depth=1
	s_or_b32 exec_lo, exec_lo, s16
	s_delay_alu instid0(SALU_CYCLE_1)
	s_and_b32 vcc_lo, exec_lo, s15
	s_cbranch_vccnz .LBB5_18
.LBB5_16:                               ;   in Loop: Header=BB5_6 Depth=1
	s_delay_alu instid0(VALU_DEP_1)
	v_mov_b64_e32 v[2:3], v[4:5]
	s_and_saveexec_b32 s15, s5
	s_cbranch_execnz .LBB5_19
	s_branch .LBB5_20
.LBB5_17:                               ;   in Loop: Header=BB5_6 Depth=1
	s_mov_b32 s5, 0
                                        ; implicit-def: $vgpr4_vgpr5
	s_cbranch_execz .LBB5_16
.LBB5_18:                               ;   in Loop: Header=BB5_6 Depth=1
	s_and_not1_b32 s5, s5, exec_lo
	s_and_b32 s15, s0, exec_lo
	s_delay_alu instid0(SALU_CYCLE_1) | instskip(NEXT) | instid1(SALU_CYCLE_1)
	s_or_b32 s5, s5, s15
	s_and_saveexec_b32 s15, s5
.LBB5_19:                               ;   in Loop: Header=BB5_6 Depth=1
	ds_store_b64 v12, v[2:3] offset:16384
.LBB5_20:                               ;   in Loop: Header=BB5_6 Depth=1
	s_or_b32 exec_lo, exec_lo, s15
	s_wait_dscnt 0x0
	s_barrier_signal -1
	s_barrier_wait -1
	s_and_saveexec_b32 s5, s2
	s_cbranch_execz .LBB5_5
; %bb.21:                               ;   in Loop: Header=BB5_6 Depth=1
	global_load_b64 v[2:3], v12, s[6:7]
	ds_load_b64 v[4:5], v12 offset:16384
	s_mov_b32 s15, 0
	v_mov_b32_e32 v6, v0
	s_wait_loadcnt_dscnt 0x0
	v_dual_mul_f64 v[2:3], v[4:5], -v[2:3] :: v_dual_mov_b32 v5, v10
	v_mov_b32_e32 v4, v1
.LBB5_22:                               ;   Parent Loop BB5_6 Depth=1
                                        ; =>  This Inner Loop Header: Depth=2
	global_load_b64 v[14:15], v5, s[10:11] scale_offset
	ds_load_b64 v[16:17], v4
	v_add_nc_u32_e32 v6, 64, v6
	v_add_nc_u32_e32 v4, 0x200, v4
	s_wait_loadcnt_dscnt 0x0
	v_fmac_f64_e32 v[14:15], v[2:3], v[16:17]
	global_store_b64 v5, v[14:15], s[10:11] scale_offset
	s_wait_xcnt 0x0
	v_add_nc_u32_e32 v5, s14, v5
	v_cmp_le_i32_e32 vcc_lo, s13, v6
	s_or_b32 s15, vcc_lo, s15
	s_delay_alu instid0(SALU_CYCLE_1)
	s_and_not1_b32 exec_lo, exec_lo, s15
	s_cbranch_execnz .LBB5_22
	s_branch .LBB5_5
.LBB5_23:
	s_endpgm
	.section	.rodata,"a",@progbits
	.p2align	6, 0x0
	.amdhsa_kernel _ZN9rocsolver6v33100L23larf_right_kernel_smallILi64EdiPdEEvT1_S3_T2_lS3_lPKT0_lS4_lS3_l
		.amdhsa_group_segment_fixed_size 16400
		.amdhsa_private_segment_fixed_size 0
		.amdhsa_kernarg_size 88
		.amdhsa_user_sgpr_count 2
		.amdhsa_user_sgpr_dispatch_ptr 0
		.amdhsa_user_sgpr_queue_ptr 0
		.amdhsa_user_sgpr_kernarg_segment_ptr 1
		.amdhsa_user_sgpr_dispatch_id 0
		.amdhsa_user_sgpr_kernarg_preload_length 0
		.amdhsa_user_sgpr_kernarg_preload_offset 0
		.amdhsa_user_sgpr_private_segment_size 0
		.amdhsa_wavefront_size32 1
		.amdhsa_uses_dynamic_stack 0
		.amdhsa_enable_private_segment 0
		.amdhsa_system_sgpr_workgroup_id_x 1
		.amdhsa_system_sgpr_workgroup_id_y 1
		.amdhsa_system_sgpr_workgroup_id_z 0
		.amdhsa_system_sgpr_workgroup_info 0
		.amdhsa_system_vgpr_workitem_id 0
		.amdhsa_next_free_vgpr 113
		.amdhsa_next_free_sgpr 26
		.amdhsa_named_barrier_count 0
		.amdhsa_reserve_vcc 1
		.amdhsa_float_round_mode_32 0
		.amdhsa_float_round_mode_16_64 0
		.amdhsa_float_denorm_mode_32 3
		.amdhsa_float_denorm_mode_16_64 3
		.amdhsa_fp16_overflow 0
		.amdhsa_memory_ordered 1
		.amdhsa_forward_progress 1
		.amdhsa_inst_pref_size 9
		.amdhsa_round_robin_scheduling 0
		.amdhsa_exception_fp_ieee_invalid_op 0
		.amdhsa_exception_fp_denorm_src 0
		.amdhsa_exception_fp_ieee_div_zero 0
		.amdhsa_exception_fp_ieee_overflow 0
		.amdhsa_exception_fp_ieee_underflow 0
		.amdhsa_exception_fp_ieee_inexact 0
		.amdhsa_exception_int_div_zero 0
	.end_amdhsa_kernel
	.section	.text._ZN9rocsolver6v33100L23larf_right_kernel_smallILi64EdiPdEEvT1_S3_T2_lS3_lPKT0_lS4_lS3_l,"axG",@progbits,_ZN9rocsolver6v33100L23larf_right_kernel_smallILi64EdiPdEEvT1_S3_T2_lS3_lPKT0_lS4_lS3_l,comdat
.Lfunc_end5:
	.size	_ZN9rocsolver6v33100L23larf_right_kernel_smallILi64EdiPdEEvT1_S3_T2_lS3_lPKT0_lS4_lS3_l, .Lfunc_end5-_ZN9rocsolver6v33100L23larf_right_kernel_smallILi64EdiPdEEvT1_S3_T2_lS3_lPKT0_lS4_lS3_l
                                        ; -- End function
	.set _ZN9rocsolver6v33100L23larf_right_kernel_smallILi64EdiPdEEvT1_S3_T2_lS3_lPKT0_lS4_lS3_l.num_vgpr, 18
	.set _ZN9rocsolver6v33100L23larf_right_kernel_smallILi64EdiPdEEvT1_S3_T2_lS3_lPKT0_lS4_lS3_l.num_agpr, 0
	.set _ZN9rocsolver6v33100L23larf_right_kernel_smallILi64EdiPdEEvT1_S3_T2_lS3_lPKT0_lS4_lS3_l.numbered_sgpr, 26
	.set _ZN9rocsolver6v33100L23larf_right_kernel_smallILi64EdiPdEEvT1_S3_T2_lS3_lPKT0_lS4_lS3_l.num_named_barrier, 0
	.set _ZN9rocsolver6v33100L23larf_right_kernel_smallILi64EdiPdEEvT1_S3_T2_lS3_lPKT0_lS4_lS3_l.private_seg_size, 0
	.set _ZN9rocsolver6v33100L23larf_right_kernel_smallILi64EdiPdEEvT1_S3_T2_lS3_lPKT0_lS4_lS3_l.uses_vcc, 1
	.set _ZN9rocsolver6v33100L23larf_right_kernel_smallILi64EdiPdEEvT1_S3_T2_lS3_lPKT0_lS4_lS3_l.uses_flat_scratch, 0
	.set _ZN9rocsolver6v33100L23larf_right_kernel_smallILi64EdiPdEEvT1_S3_T2_lS3_lPKT0_lS4_lS3_l.has_dyn_sized_stack, 0
	.set _ZN9rocsolver6v33100L23larf_right_kernel_smallILi64EdiPdEEvT1_S3_T2_lS3_lPKT0_lS4_lS3_l.has_recursion, 0
	.set _ZN9rocsolver6v33100L23larf_right_kernel_smallILi64EdiPdEEvT1_S3_T2_lS3_lPKT0_lS4_lS3_l.has_indirect_call, 0
	.section	.AMDGPU.csdata,"",@progbits
; Kernel info:
; codeLenInByte = 1116
; TotalNumSgprs: 28
; NumVgprs: 18
; ScratchSize: 0
; MemoryBound: 0
; FloatMode: 240
; IeeeMode: 1
; LDSByteSize: 16400 bytes/workgroup (compile time only)
; SGPRBlocks: 0
; VGPRBlocks: 7
; NumSGPRsForWavesPerEU: 28
; NumVGPRsForWavesPerEU: 113
; NamedBarCnt: 0
; Occupancy: 8
; WaveLimiterHint : 0
; COMPUTE_PGM_RSRC2:SCRATCH_EN: 0
; COMPUTE_PGM_RSRC2:USER_SGPR: 2
; COMPUTE_PGM_RSRC2:TRAP_HANDLER: 0
; COMPUTE_PGM_RSRC2:TGID_X_EN: 1
; COMPUTE_PGM_RSRC2:TGID_Y_EN: 1
; COMPUTE_PGM_RSRC2:TGID_Z_EN: 0
; COMPUTE_PGM_RSRC2:TIDIG_COMP_CNT: 0
	.section	.text._ZN9rocsolver6v33100L23larf_right_kernel_smallILi128EdiPdEEvT1_S3_T2_lS3_lPKT0_lS4_lS3_l,"axG",@progbits,_ZN9rocsolver6v33100L23larf_right_kernel_smallILi128EdiPdEEvT1_S3_T2_lS3_lPKT0_lS4_lS3_l,comdat
	.globl	_ZN9rocsolver6v33100L23larf_right_kernel_smallILi128EdiPdEEvT1_S3_T2_lS3_lPKT0_lS4_lS3_l ; -- Begin function _ZN9rocsolver6v33100L23larf_right_kernel_smallILi128EdiPdEEvT1_S3_T2_lS3_lPKT0_lS4_lS3_l
	.p2align	8
	.type	_ZN9rocsolver6v33100L23larf_right_kernel_smallILi128EdiPdEEvT1_S3_T2_lS3_lPKT0_lS4_lS3_l,@function
_ZN9rocsolver6v33100L23larf_right_kernel_smallILi128EdiPdEEvT1_S3_T2_lS3_lPKT0_lS4_lS3_l: ; @_ZN9rocsolver6v33100L23larf_right_kernel_smallILi128EdiPdEEvT1_S3_T2_lS3_lPKT0_lS4_lS3_l
; %bb.0:
	s_clause 0x2
	s_load_b64 s[12:13], s[0:1], 0x0
	s_load_b256 s[4:11], s[0:1], 0x20
	s_load_b64 s[16:17], s[0:1], 0x40
	s_bfe_u32 s2, ttmp6, 0x4000c
	s_and_b32 s14, ttmp6, 15
	s_add_co_i32 s2, s2, 1
	s_getreg_b32 s3, hwreg(HW_REG_IB_STS2, 6, 4)
	s_mul_i32 s2, ttmp9, s2
	v_lshlrev_b32_e32 v1, 3, v0
	s_add_co_i32 s14, s14, s2
	s_cmp_eq_u32 s3, 0
	s_mov_b32 s18, 0
	s_cselect_b32 s14, ttmp9, s14
	s_delay_alu instid0(SALU_CYCLE_1)
	s_ashr_i32 s15, s14, 31
	s_wait_kmcnt 0x0
	v_cmp_gt_i32_e64 s2, s13, v0
	s_and_saveexec_b32 s19, s2
	s_cbranch_execz .LBB6_3
; %bb.1:
	s_clause 0x1
	s_load_b128 s[20:23], s[0:1], 0x8
	s_load_b32 s24, s[0:1], 0x18
	s_mul_u64 s[4:5], s[4:5], s[14:15]
	s_sub_co_i32 s25, 1, s13
	s_lshl_b64 s[4:5], s[4:5], 3
	v_dual_mov_b32 v4, v0 :: v_dual_lshlrev_b32 v3, 3, v0
	s_wait_kmcnt 0x0
	s_lshl_b64 s[22:23], s[22:23], 3
	s_mul_i32 s25, s24, s25
	s_cmp_lt_i32 s24, 1
	s_add_nc_u64 s[4:5], s[20:21], s[4:5]
	s_cselect_b32 s25, s25, 0
	s_add_nc_u64 s[4:5], s[4:5], s[22:23]
	v_mad_u32 v2, v0, s24, s25
	s_lshl_b32 s20, s24, 7
.LBB6_2:                                ; =>This Inner Loop Header: Depth=1
	global_load_b64 v[6:7], v2, s[4:5] scale_offset
	v_add_nc_u32_e32 v4, 0x80, v4
	s_wait_xcnt 0x0
	v_add_nc_u32_e32 v2, s20, v2
	s_delay_alu instid0(VALU_DEP_2)
	v_cmp_le_i32_e32 vcc_lo, s13, v4
	s_or_b32 s18, vcc_lo, s18
	s_wait_loadcnt 0x0
	ds_store_b64 v3, v[6:7]
	v_add_nc_u32_e32 v3, 0x400, v3
	s_and_not1_b32 exec_lo, exec_lo, s18
	s_cbranch_execnz .LBB6_2
.LBB6_3:
	s_or_b32 exec_lo, exec_lo, s19
	s_bfe_u32 s4, ttmp6, 0x40010
	s_bfe_u32 s5, ttmp6, 0x40004
	s_add_co_i32 s4, s4, 1
	s_wait_dscnt 0x0
	s_mul_i32 s4, ttmp7, s4
	s_barrier_signal -1
	s_add_co_i32 s5, s5, s4
	s_cmp_eq_u32 s3, 0
	s_barrier_wait -1
	s_cselect_b32 s4, ttmp7, s5
	s_delay_alu instid0(SALU_CYCLE_1)
	s_cmp_ge_i32 s4, s12
	s_cbranch_scc1 .LBB6_23
; %bb.4:
	s_clause 0x1
	s_load_b64 s[18:19], s[0:1], 0x50
	s_load_b32 s5, s[0:1], 0x48
	s_mul_u64 s[8:9], s[8:9], s[14:15]
	v_dual_lshrrev_b32 v8, 2, v0 :: v_dual_bitop2_b32 v2, 31, v0 bitop3:0x40
	v_mbcnt_lo_u32_b32 v9, -1, 0
	s_lshl_b64 s[20:21], s[8:9], 3
	s_lshl_b64 s[16:17], s[16:17], 3
	s_wait_xcnt 0x0
	v_cmp_eq_u32_e64 s0, 0, v0
	v_dual_mov_b32 v10, 0x4008 :: v_dual_mov_b32 v13, 0
	v_cmp_eq_u32_e64 s1, 0, v2
	v_lshl_or_b32 v12, v9, 2, 64
	s_add_nc_u64 s[6:7], s[6:7], s[20:21]
	s_wait_kmcnt 0x0
	s_mul_u64 s[8:9], s[18:19], s[14:15]
	v_mul_lo_u32 v11, v0, s5
	s_lshl_b64 s[8:9], s[8:9], 3
	s_cmp_gt_i32 s13, 1
	s_add_nc_u64 s[8:9], s[10:11], s[8:9]
	s_cselect_b32 s3, -1, 0
	s_add_nc_u64 s[8:9], s[8:9], s[16:17]
	s_lshl_b32 s14, s5, 7
	s_branch .LBB6_6
.LBB6_5:                                ;   in Loop: Header=BB6_6 Depth=1
	s_or_b32 exec_lo, exec_lo, s5
	s_add_co_i32 s4, s4, 64
	s_delay_alu instid0(SALU_CYCLE_1)
	s_cmp_ge_i32 s4, s12
	s_cbranch_scc1 .LBB6_23
.LBB6_6:                                ; =>This Loop Header: Depth=1
                                        ;     Child Loop BB6_8 Depth 2
                                        ;     Child Loop BB6_22 Depth 2
	v_mov_b64_e32 v[2:3], 0
	s_ashr_i32 s5, s4, 31
	s_delay_alu instid0(SALU_CYCLE_1) | instskip(NEXT) | instid1(SALU_CYCLE_1)
	s_lshl_b64 s[10:11], s[4:5], 3
	s_add_nc_u64 s[10:11], s[8:9], s[10:11]
	s_and_saveexec_b32 s5, s2
	s_cbranch_execz .LBB6_10
; %bb.7:                                ;   in Loop: Header=BB6_6 Depth=1
	v_mov_b64_e32 v[2:3], 0
	v_dual_mov_b32 v4, v11 :: v_dual_mov_b32 v5, v1
	v_mov_b32_e32 v6, v0
	s_mov_b32 s15, 0
.LBB6_8:                                ;   Parent Loop BB6_6 Depth=1
                                        ; =>  This Inner Loop Header: Depth=2
	global_load_b64 v[14:15], v4, s[10:11] scale_offset
	ds_load_b64 v[16:17], v5
	v_add_nc_u32_e32 v6, 0x80, v6
	v_add_nc_u32_e32 v5, 0x400, v5
	s_wait_xcnt 0x0
	v_add_nc_u32_e32 v4, s14, v4
	s_delay_alu instid0(VALU_DEP_3)
	v_cmp_le_i32_e32 vcc_lo, s13, v6
	s_or_b32 s15, vcc_lo, s15
	s_wait_loadcnt_dscnt 0x0
	v_fmac_f64_e32 v[2:3], v[16:17], v[14:15]
	s_and_not1_b32 exec_lo, exec_lo, s15
	s_cbranch_execnz .LBB6_8
; %bb.9:                                ;   in Loop: Header=BB6_6 Depth=1
	s_or_b32 exec_lo, exec_lo, s15
.LBB6_10:                               ;   in Loop: Header=BB6_6 Depth=1
	s_delay_alu instid0(SALU_CYCLE_1) | instskip(NEXT) | instid1(SALU_CYCLE_1)
	s_or_b32 exec_lo, exec_lo, s5
	s_and_b32 vcc_lo, exec_lo, s3
	s_cbranch_vccz .LBB6_17
; %bb.11:                               ;   in Loop: Header=BB6_6 Depth=1
	v_cmp_ne_u32_e32 vcc_lo, 31, v9
	v_add_co_ci_u32_e64 v4, null, 0, v9, vcc_lo
	v_cmp_gt_u32_e32 vcc_lo, 30, v9
	s_delay_alu instid0(VALU_DEP_2)
	v_lshlrev_b32_e32 v5, 2, v4
	v_cndmask_b32_e64 v6, 0, 2, vcc_lo
	v_cmp_gt_u32_e32 vcc_lo, 28, v9
	ds_bpermute_b32 v4, v5, v2
	ds_bpermute_b32 v5, v5, v3
	v_add_lshl_u32 v7, v6, v9, 2
	s_wait_dscnt 0x0
	v_add_f64_e32 v[4:5], v[2:3], v[4:5]
	ds_bpermute_b32 v6, v7, v4
	ds_bpermute_b32 v7, v7, v5
	s_wait_dscnt 0x0
	v_add_f64_e32 v[4:5], v[4:5], v[6:7]
	v_cndmask_b32_e64 v6, 0, 4, vcc_lo
	v_cmp_gt_u32_e32 vcc_lo, 24, v9
	s_delay_alu instid0(VALU_DEP_2)
	v_add_lshl_u32 v7, v6, v9, 2
	ds_bpermute_b32 v6, v7, v4
	ds_bpermute_b32 v7, v7, v5
	s_wait_dscnt 0x0
	v_add_f64_e32 v[4:5], v[4:5], v[6:7]
	v_cndmask_b32_e64 v6, 0, 8, vcc_lo
	s_delay_alu instid0(VALU_DEP_1)
	v_add_lshl_u32 v7, v6, v9, 2
	ds_bpermute_b32 v6, v7, v4
	ds_bpermute_b32 v7, v7, v5
	s_wait_dscnt 0x0
	v_add_f64_e32 v[4:5], v[4:5], v[6:7]
	ds_bpermute_b32 v6, v12, v4
	ds_bpermute_b32 v7, v12, v5
	s_wait_dscnt 0x0
	v_add_f64_e32 v[4:5], v[4:5], v[6:7]
	s_and_saveexec_b32 s5, s1
; %bb.12:                               ;   in Loop: Header=BB6_6 Depth=1
	ds_store_b64 v8, v[4:5] offset:16384
; %bb.13:                               ;   in Loop: Header=BB6_6 Depth=1
	s_or_b32 exec_lo, exec_lo, s5
	s_mov_b32 s15, 0
	s_mov_b32 s5, 0
	s_wait_dscnt 0x0
	s_barrier_signal -1
	s_barrier_wait -1
                                        ; implicit-def: $vgpr6_vgpr7
	s_and_saveexec_b32 s16, s0
	s_delay_alu instid0(SALU_CYCLE_1)
	s_xor_b32 s16, exec_lo, s16
	s_cbranch_execz .LBB6_15
; %bb.14:                               ;   in Loop: Header=BB6_6 Depth=1
	ds_load_2addr_b64 v[14:17], v10 offset1:1
	ds_load_b64 v[6:7], v13 offset:16408
	s_mov_b32 s5, exec_lo
	s_wait_dscnt 0x1
	v_add_f64_e32 v[4:5], v[4:5], v[14:15]
	s_delay_alu instid0(VALU_DEP_1) | instskip(SKIP_1) | instid1(VALU_DEP_1)
	v_add_f64_e32 v[4:5], v[4:5], v[16:17]
	s_wait_dscnt 0x0
	v_add_f64_e32 v[6:7], v[4:5], v[6:7]
.LBB6_15:                               ;   in Loop: Header=BB6_6 Depth=1
	s_or_b32 exec_lo, exec_lo, s16
	s_delay_alu instid0(SALU_CYCLE_1)
	s_and_b32 vcc_lo, exec_lo, s15
	s_cbranch_vccnz .LBB6_18
.LBB6_16:                               ;   in Loop: Header=BB6_6 Depth=1
	s_delay_alu instid0(VALU_DEP_1)
	v_mov_b64_e32 v[2:3], v[6:7]
	s_and_saveexec_b32 s15, s5
	s_cbranch_execnz .LBB6_19
	s_branch .LBB6_20
.LBB6_17:                               ;   in Loop: Header=BB6_6 Depth=1
	s_mov_b32 s5, 0
                                        ; implicit-def: $vgpr6_vgpr7
	s_cbranch_execz .LBB6_16
.LBB6_18:                               ;   in Loop: Header=BB6_6 Depth=1
	s_and_not1_b32 s5, s5, exec_lo
	s_and_b32 s15, s0, exec_lo
	s_delay_alu instid0(SALU_CYCLE_1) | instskip(NEXT) | instid1(SALU_CYCLE_1)
	s_or_b32 s5, s5, s15
	s_and_saveexec_b32 s15, s5
.LBB6_19:                               ;   in Loop: Header=BB6_6 Depth=1
	ds_store_b64 v13, v[2:3] offset:16384
.LBB6_20:                               ;   in Loop: Header=BB6_6 Depth=1
	s_or_b32 exec_lo, exec_lo, s15
	s_wait_dscnt 0x0
	s_barrier_signal -1
	s_barrier_wait -1
	s_and_saveexec_b32 s5, s2
	s_cbranch_execz .LBB6_5
; %bb.21:                               ;   in Loop: Header=BB6_6 Depth=1
	global_load_b64 v[2:3], v13, s[6:7]
	ds_load_b64 v[4:5], v13 offset:16384
	s_mov_b32 s15, 0
	v_mov_b32_e32 v6, v0
	s_wait_loadcnt_dscnt 0x0
	v_dual_mul_f64 v[2:3], v[4:5], -v[2:3] :: v_dual_mov_b32 v5, v11
	v_mov_b32_e32 v4, v1
.LBB6_22:                               ;   Parent Loop BB6_6 Depth=1
                                        ; =>  This Inner Loop Header: Depth=2
	global_load_b64 v[14:15], v5, s[10:11] scale_offset
	ds_load_b64 v[16:17], v4
	v_add_nc_u32_e32 v6, 0x80, v6
	v_add_nc_u32_e32 v4, 0x400, v4
	s_delay_alu instid0(VALU_DEP_2)
	v_cmp_le_i32_e32 vcc_lo, s13, v6
	s_or_b32 s15, vcc_lo, s15
	s_wait_loadcnt_dscnt 0x0
	v_fmac_f64_e32 v[14:15], v[2:3], v[16:17]
	global_store_b64 v5, v[14:15], s[10:11] scale_offset
	s_wait_xcnt 0x0
	v_add_nc_u32_e32 v5, s14, v5
	s_and_not1_b32 exec_lo, exec_lo, s15
	s_cbranch_execnz .LBB6_22
	s_branch .LBB6_5
.LBB6_23:
	s_endpgm
	.section	.rodata,"a",@progbits
	.p2align	6, 0x0
	.amdhsa_kernel _ZN9rocsolver6v33100L23larf_right_kernel_smallILi128EdiPdEEvT1_S3_T2_lS3_lPKT0_lS4_lS3_l
		.amdhsa_group_segment_fixed_size 16416
		.amdhsa_private_segment_fixed_size 0
		.amdhsa_kernarg_size 88
		.amdhsa_user_sgpr_count 2
		.amdhsa_user_sgpr_dispatch_ptr 0
		.amdhsa_user_sgpr_queue_ptr 0
		.amdhsa_user_sgpr_kernarg_segment_ptr 1
		.amdhsa_user_sgpr_dispatch_id 0
		.amdhsa_user_sgpr_kernarg_preload_length 0
		.amdhsa_user_sgpr_kernarg_preload_offset 0
		.amdhsa_user_sgpr_private_segment_size 0
		.amdhsa_wavefront_size32 1
		.amdhsa_uses_dynamic_stack 0
		.amdhsa_enable_private_segment 0
		.amdhsa_system_sgpr_workgroup_id_x 1
		.amdhsa_system_sgpr_workgroup_id_y 1
		.amdhsa_system_sgpr_workgroup_id_z 0
		.amdhsa_system_sgpr_workgroup_info 0
		.amdhsa_system_vgpr_workitem_id 0
		.amdhsa_next_free_vgpr 18
		.amdhsa_next_free_sgpr 26
		.amdhsa_named_barrier_count 0
		.amdhsa_reserve_vcc 1
		.amdhsa_float_round_mode_32 0
		.amdhsa_float_round_mode_16_64 0
		.amdhsa_float_denorm_mode_32 3
		.amdhsa_float_denorm_mode_16_64 3
		.amdhsa_fp16_overflow 0
		.amdhsa_memory_ordered 1
		.amdhsa_forward_progress 1
		.amdhsa_inst_pref_size 9
		.amdhsa_round_robin_scheduling 0
		.amdhsa_exception_fp_ieee_invalid_op 0
		.amdhsa_exception_fp_denorm_src 0
		.amdhsa_exception_fp_ieee_div_zero 0
		.amdhsa_exception_fp_ieee_overflow 0
		.amdhsa_exception_fp_ieee_underflow 0
		.amdhsa_exception_fp_ieee_inexact 0
		.amdhsa_exception_int_div_zero 0
	.end_amdhsa_kernel
	.section	.text._ZN9rocsolver6v33100L23larf_right_kernel_smallILi128EdiPdEEvT1_S3_T2_lS3_lPKT0_lS4_lS3_l,"axG",@progbits,_ZN9rocsolver6v33100L23larf_right_kernel_smallILi128EdiPdEEvT1_S3_T2_lS3_lPKT0_lS4_lS3_l,comdat
.Lfunc_end6:
	.size	_ZN9rocsolver6v33100L23larf_right_kernel_smallILi128EdiPdEEvT1_S3_T2_lS3_lPKT0_lS4_lS3_l, .Lfunc_end6-_ZN9rocsolver6v33100L23larf_right_kernel_smallILi128EdiPdEEvT1_S3_T2_lS3_lPKT0_lS4_lS3_l
                                        ; -- End function
	.set _ZN9rocsolver6v33100L23larf_right_kernel_smallILi128EdiPdEEvT1_S3_T2_lS3_lPKT0_lS4_lS3_l.num_vgpr, 18
	.set _ZN9rocsolver6v33100L23larf_right_kernel_smallILi128EdiPdEEvT1_S3_T2_lS3_lPKT0_lS4_lS3_l.num_agpr, 0
	.set _ZN9rocsolver6v33100L23larf_right_kernel_smallILi128EdiPdEEvT1_S3_T2_lS3_lPKT0_lS4_lS3_l.numbered_sgpr, 26
	.set _ZN9rocsolver6v33100L23larf_right_kernel_smallILi128EdiPdEEvT1_S3_T2_lS3_lPKT0_lS4_lS3_l.num_named_barrier, 0
	.set _ZN9rocsolver6v33100L23larf_right_kernel_smallILi128EdiPdEEvT1_S3_T2_lS3_lPKT0_lS4_lS3_l.private_seg_size, 0
	.set _ZN9rocsolver6v33100L23larf_right_kernel_smallILi128EdiPdEEvT1_S3_T2_lS3_lPKT0_lS4_lS3_l.uses_vcc, 1
	.set _ZN9rocsolver6v33100L23larf_right_kernel_smallILi128EdiPdEEvT1_S3_T2_lS3_lPKT0_lS4_lS3_l.uses_flat_scratch, 0
	.set _ZN9rocsolver6v33100L23larf_right_kernel_smallILi128EdiPdEEvT1_S3_T2_lS3_lPKT0_lS4_lS3_l.has_dyn_sized_stack, 0
	.set _ZN9rocsolver6v33100L23larf_right_kernel_smallILi128EdiPdEEvT1_S3_T2_lS3_lPKT0_lS4_lS3_l.has_recursion, 0
	.set _ZN9rocsolver6v33100L23larf_right_kernel_smallILi128EdiPdEEvT1_S3_T2_lS3_lPKT0_lS4_lS3_l.has_indirect_call, 0
	.section	.AMDGPU.csdata,"",@progbits
; Kernel info:
; codeLenInByte = 1152
; TotalNumSgprs: 28
; NumVgprs: 18
; ScratchSize: 0
; MemoryBound: 0
; FloatMode: 240
; IeeeMode: 1
; LDSByteSize: 16416 bytes/workgroup (compile time only)
; SGPRBlocks: 0
; VGPRBlocks: 1
; NumSGPRsForWavesPerEU: 28
; NumVGPRsForWavesPerEU: 18
; NamedBarCnt: 0
; Occupancy: 16
; WaveLimiterHint : 0
; COMPUTE_PGM_RSRC2:SCRATCH_EN: 0
; COMPUTE_PGM_RSRC2:USER_SGPR: 2
; COMPUTE_PGM_RSRC2:TRAP_HANDLER: 0
; COMPUTE_PGM_RSRC2:TGID_X_EN: 1
; COMPUTE_PGM_RSRC2:TGID_Y_EN: 1
; COMPUTE_PGM_RSRC2:TGID_Z_EN: 0
; COMPUTE_PGM_RSRC2:TIDIG_COMP_CNT: 0
	.section	.text._ZN9rocsolver6v33100L23larf_right_kernel_smallILi256EdiPdEEvT1_S3_T2_lS3_lPKT0_lS4_lS3_l,"axG",@progbits,_ZN9rocsolver6v33100L23larf_right_kernel_smallILi256EdiPdEEvT1_S3_T2_lS3_lPKT0_lS4_lS3_l,comdat
	.globl	_ZN9rocsolver6v33100L23larf_right_kernel_smallILi256EdiPdEEvT1_S3_T2_lS3_lPKT0_lS4_lS3_l ; -- Begin function _ZN9rocsolver6v33100L23larf_right_kernel_smallILi256EdiPdEEvT1_S3_T2_lS3_lPKT0_lS4_lS3_l
	.p2align	8
	.type	_ZN9rocsolver6v33100L23larf_right_kernel_smallILi256EdiPdEEvT1_S3_T2_lS3_lPKT0_lS4_lS3_l,@function
_ZN9rocsolver6v33100L23larf_right_kernel_smallILi256EdiPdEEvT1_S3_T2_lS3_lPKT0_lS4_lS3_l: ; @_ZN9rocsolver6v33100L23larf_right_kernel_smallILi256EdiPdEEvT1_S3_T2_lS3_lPKT0_lS4_lS3_l
; %bb.0:
	s_clause 0x2
	s_load_b64 s[12:13], s[0:1], 0x0
	s_load_b256 s[4:11], s[0:1], 0x20
	s_load_b64 s[16:17], s[0:1], 0x40
	s_bfe_u32 s2, ttmp6, 0x4000c
	s_and_b32 s14, ttmp6, 15
	s_add_co_i32 s2, s2, 1
	s_getreg_b32 s3, hwreg(HW_REG_IB_STS2, 6, 4)
	s_mul_i32 s2, ttmp9, s2
	v_lshlrev_b32_e32 v1, 3, v0
	s_add_co_i32 s14, s14, s2
	s_cmp_eq_u32 s3, 0
	s_mov_b32 s18, 0
	s_cselect_b32 s14, ttmp9, s14
	s_delay_alu instid0(SALU_CYCLE_1)
	s_ashr_i32 s15, s14, 31
	s_wait_kmcnt 0x0
	v_cmp_gt_i32_e64 s2, s13, v0
	s_and_saveexec_b32 s19, s2
	s_cbranch_execz .LBB7_3
; %bb.1:
	s_clause 0x1
	s_load_b128 s[20:23], s[0:1], 0x8
	s_load_b32 s24, s[0:1], 0x18
	s_mul_u64 s[4:5], s[4:5], s[14:15]
	s_sub_co_i32 s25, 1, s13
	s_lshl_b64 s[4:5], s[4:5], 3
	v_dual_mov_b32 v4, v0 :: v_dual_lshlrev_b32 v3, 3, v0
	s_wait_kmcnt 0x0
	s_lshl_b64 s[22:23], s[22:23], 3
	s_mul_i32 s25, s24, s25
	s_cmp_lt_i32 s24, 1
	s_add_nc_u64 s[4:5], s[20:21], s[4:5]
	s_cselect_b32 s25, s25, 0
	s_add_nc_u64 s[4:5], s[4:5], s[22:23]
	v_mad_u32 v2, v0, s24, s25
	s_lshl_b32 s20, s24, 8
.LBB7_2:                                ; =>This Inner Loop Header: Depth=1
	global_load_b64 v[6:7], v2, s[4:5] scale_offset
	v_add_nc_u32_e32 v4, 0x100, v4
	s_wait_xcnt 0x0
	v_add_nc_u32_e32 v2, s20, v2
	s_delay_alu instid0(VALU_DEP_2)
	v_cmp_le_i32_e32 vcc_lo, s13, v4
	s_or_b32 s18, vcc_lo, s18
	s_wait_loadcnt 0x0
	ds_store_b64 v3, v[6:7]
	v_add_nc_u32_e32 v3, 0x800, v3
	s_and_not1_b32 exec_lo, exec_lo, s18
	s_cbranch_execnz .LBB7_2
.LBB7_3:
	s_or_b32 exec_lo, exec_lo, s19
	s_bfe_u32 s4, ttmp6, 0x40010
	s_bfe_u32 s5, ttmp6, 0x40004
	s_add_co_i32 s4, s4, 1
	s_wait_dscnt 0x0
	s_mul_i32 s4, ttmp7, s4
	s_barrier_signal -1
	s_add_co_i32 s5, s5, s4
	s_cmp_eq_u32 s3, 0
	s_barrier_wait -1
	s_cselect_b32 s4, ttmp7, s5
	s_delay_alu instid0(SALU_CYCLE_1)
	s_cmp_ge_i32 s4, s12
	s_cbranch_scc1 .LBB7_23
; %bb.4:
	s_clause 0x1
	s_load_b64 s[18:19], s[0:1], 0x50
	s_load_b32 s5, s[0:1], 0x48
	s_mul_u64 s[8:9], s[8:9], s[14:15]
	v_dual_lshrrev_b32 v8, 2, v0 :: v_dual_bitop2_b32 v2, 31, v0 bitop3:0x40
	v_mbcnt_lo_u32_b32 v9, -1, 0
	s_lshl_b64 s[20:21], s[8:9], 3
	s_lshl_b64 s[16:17], s[16:17], 3
	s_wait_xcnt 0x0
	v_cmp_eq_u32_e64 s0, 0, v0
	v_dual_mov_b32 v10, 0x4008 :: v_dual_mov_b32 v15, 0
	v_mov_b32_e32 v11, 0x4018
	v_mov_b32_e32 v12, 0x4028
	v_cmp_eq_u32_e64 s1, 0, v2
	v_lshl_or_b32 v14, v9, 2, 64
	s_add_nc_u64 s[6:7], s[6:7], s[20:21]
	s_wait_kmcnt 0x0
	s_mul_u64 s[8:9], s[18:19], s[14:15]
	v_mul_lo_u32 v13, v0, s5
	s_lshl_b64 s[8:9], s[8:9], 3
	s_cmp_gt_i32 s13, 1
	s_add_nc_u64 s[8:9], s[10:11], s[8:9]
	s_cselect_b32 s3, -1, 0
	s_add_nc_u64 s[8:9], s[8:9], s[16:17]
	s_lshl_b32 s14, s5, 8
	s_branch .LBB7_6
.LBB7_5:                                ;   in Loop: Header=BB7_6 Depth=1
	s_or_b32 exec_lo, exec_lo, s5
	s_add_co_i32 s4, s4, 64
	s_delay_alu instid0(SALU_CYCLE_1)
	s_cmp_ge_i32 s4, s12
	s_cbranch_scc1 .LBB7_23
.LBB7_6:                                ; =>This Loop Header: Depth=1
                                        ;     Child Loop BB7_8 Depth 2
                                        ;     Child Loop BB7_22 Depth 2
	v_mov_b64_e32 v[2:3], 0
	s_ashr_i32 s5, s4, 31
	s_delay_alu instid0(SALU_CYCLE_1) | instskip(NEXT) | instid1(SALU_CYCLE_1)
	s_lshl_b64 s[10:11], s[4:5], 3
	s_add_nc_u64 s[10:11], s[8:9], s[10:11]
	s_and_saveexec_b32 s5, s2
	s_cbranch_execz .LBB7_10
; %bb.7:                                ;   in Loop: Header=BB7_6 Depth=1
	v_mov_b64_e32 v[2:3], 0
	v_dual_mov_b32 v4, v13 :: v_dual_mov_b32 v5, v1
	v_mov_b32_e32 v6, v0
	s_mov_b32 s15, 0
.LBB7_8:                                ;   Parent Loop BB7_6 Depth=1
                                        ; =>  This Inner Loop Header: Depth=2
	global_load_b64 v[16:17], v4, s[10:11] scale_offset
	ds_load_b64 v[18:19], v5
	v_add_nc_u32_e32 v6, 0x100, v6
	v_add_nc_u32_e32 v5, 0x800, v5
	s_wait_xcnt 0x0
	v_add_nc_u32_e32 v4, s14, v4
	s_delay_alu instid0(VALU_DEP_3)
	v_cmp_le_i32_e32 vcc_lo, s13, v6
	s_or_b32 s15, vcc_lo, s15
	s_wait_loadcnt_dscnt 0x0
	v_fmac_f64_e32 v[2:3], v[18:19], v[16:17]
	s_and_not1_b32 exec_lo, exec_lo, s15
	s_cbranch_execnz .LBB7_8
; %bb.9:                                ;   in Loop: Header=BB7_6 Depth=1
	s_or_b32 exec_lo, exec_lo, s15
.LBB7_10:                               ;   in Loop: Header=BB7_6 Depth=1
	s_delay_alu instid0(SALU_CYCLE_1) | instskip(NEXT) | instid1(SALU_CYCLE_1)
	s_or_b32 exec_lo, exec_lo, s5
	s_and_b32 vcc_lo, exec_lo, s3
	s_cbranch_vccz .LBB7_17
; %bb.11:                               ;   in Loop: Header=BB7_6 Depth=1
	v_cmp_ne_u32_e32 vcc_lo, 31, v9
	v_add_co_ci_u32_e64 v4, null, 0, v9, vcc_lo
	v_cmp_gt_u32_e32 vcc_lo, 30, v9
	s_delay_alu instid0(VALU_DEP_2)
	v_lshlrev_b32_e32 v5, 2, v4
	v_cndmask_b32_e64 v6, 0, 2, vcc_lo
	v_cmp_gt_u32_e32 vcc_lo, 28, v9
	ds_bpermute_b32 v4, v5, v2
	ds_bpermute_b32 v5, v5, v3
	v_add_lshl_u32 v7, v6, v9, 2
	s_wait_dscnt 0x0
	v_add_f64_e32 v[4:5], v[2:3], v[4:5]
	ds_bpermute_b32 v6, v7, v4
	ds_bpermute_b32 v7, v7, v5
	s_wait_dscnt 0x0
	v_add_f64_e32 v[4:5], v[4:5], v[6:7]
	v_cndmask_b32_e64 v6, 0, 4, vcc_lo
	v_cmp_gt_u32_e32 vcc_lo, 24, v9
	s_delay_alu instid0(VALU_DEP_2)
	v_add_lshl_u32 v7, v6, v9, 2
	ds_bpermute_b32 v6, v7, v4
	ds_bpermute_b32 v7, v7, v5
	s_wait_dscnt 0x0
	v_add_f64_e32 v[4:5], v[4:5], v[6:7]
	v_cndmask_b32_e64 v6, 0, 8, vcc_lo
	s_delay_alu instid0(VALU_DEP_1)
	v_add_lshl_u32 v7, v6, v9, 2
	ds_bpermute_b32 v6, v7, v4
	ds_bpermute_b32 v7, v7, v5
	s_wait_dscnt 0x0
	v_add_f64_e32 v[4:5], v[4:5], v[6:7]
	ds_bpermute_b32 v6, v14, v4
	ds_bpermute_b32 v7, v14, v5
	s_wait_dscnt 0x0
	v_add_f64_e32 v[4:5], v[4:5], v[6:7]
	s_and_saveexec_b32 s5, s1
; %bb.12:                               ;   in Loop: Header=BB7_6 Depth=1
	ds_store_b64 v8, v[4:5] offset:16384
; %bb.13:                               ;   in Loop: Header=BB7_6 Depth=1
	s_or_b32 exec_lo, exec_lo, s5
	s_mov_b32 s15, 0
	s_mov_b32 s5, 0
	s_wait_dscnt 0x0
	s_barrier_signal -1
	s_barrier_wait -1
                                        ; implicit-def: $vgpr6_vgpr7
	s_and_saveexec_b32 s16, s0
	s_delay_alu instid0(SALU_CYCLE_1)
	s_xor_b32 s16, exec_lo, s16
	s_cbranch_execz .LBB7_15
; %bb.14:                               ;   in Loop: Header=BB7_6 Depth=1
	ds_load_2addr_b64 v[16:19], v10 offset1:1
	ds_load_2addr_b64 v[20:23], v11 offset1:1
	s_mov_b32 s5, exec_lo
	s_wait_dscnt 0x1
	v_add_f64_e32 v[4:5], v[4:5], v[16:17]
	s_delay_alu instid0(VALU_DEP_1) | instskip(SKIP_1) | instid1(VALU_DEP_1)
	v_add_f64_e32 v[4:5], v[4:5], v[18:19]
	s_wait_dscnt 0x0
	v_add_f64_e32 v[4:5], v[4:5], v[20:21]
	s_delay_alu instid0(VALU_DEP_1) | instskip(SKIP_4) | instid1(VALU_DEP_1)
	v_add_f64_e32 v[16:17], v[4:5], v[22:23]
	ds_load_2addr_b64 v[4:7], v12 offset1:1
	ds_load_b64 v[18:19], v15 offset:16440
	s_wait_dscnt 0x1
	v_add_f64_e32 v[4:5], v[16:17], v[4:5]
	v_add_f64_e32 v[4:5], v[4:5], v[6:7]
	s_wait_dscnt 0x0
	s_delay_alu instid0(VALU_DEP_1)
	v_add_f64_e32 v[6:7], v[4:5], v[18:19]
.LBB7_15:                               ;   in Loop: Header=BB7_6 Depth=1
	s_or_b32 exec_lo, exec_lo, s16
	s_delay_alu instid0(SALU_CYCLE_1)
	s_and_b32 vcc_lo, exec_lo, s15
	s_cbranch_vccnz .LBB7_18
.LBB7_16:                               ;   in Loop: Header=BB7_6 Depth=1
	s_delay_alu instid0(VALU_DEP_1)
	v_mov_b64_e32 v[2:3], v[6:7]
	s_and_saveexec_b32 s15, s5
	s_cbranch_execnz .LBB7_19
	s_branch .LBB7_20
.LBB7_17:                               ;   in Loop: Header=BB7_6 Depth=1
	s_mov_b32 s5, 0
                                        ; implicit-def: $vgpr6_vgpr7
	s_cbranch_execz .LBB7_16
.LBB7_18:                               ;   in Loop: Header=BB7_6 Depth=1
	s_and_not1_b32 s5, s5, exec_lo
	s_and_b32 s15, s0, exec_lo
	s_delay_alu instid0(SALU_CYCLE_1) | instskip(NEXT) | instid1(SALU_CYCLE_1)
	s_or_b32 s5, s5, s15
	s_and_saveexec_b32 s15, s5
.LBB7_19:                               ;   in Loop: Header=BB7_6 Depth=1
	ds_store_b64 v15, v[2:3] offset:16384
.LBB7_20:                               ;   in Loop: Header=BB7_6 Depth=1
	s_or_b32 exec_lo, exec_lo, s15
	s_wait_dscnt 0x0
	s_barrier_signal -1
	s_barrier_wait -1
	s_and_saveexec_b32 s5, s2
	s_cbranch_execz .LBB7_5
; %bb.21:                               ;   in Loop: Header=BB7_6 Depth=1
	global_load_b64 v[2:3], v15, s[6:7]
	ds_load_b64 v[4:5], v15 offset:16384
	v_mov_b32_e32 v6, v0
	s_mov_b32 s15, 0
	s_wait_loadcnt_dscnt 0x0
	v_mul_f64_e64 v[2:3], v[4:5], -v[2:3]
	v_dual_mov_b32 v4, v1 :: v_dual_mov_b32 v5, v13
.LBB7_22:                               ;   Parent Loop BB7_6 Depth=1
                                        ; =>  This Inner Loop Header: Depth=2
	global_load_b64 v[16:17], v5, s[10:11] scale_offset
	ds_load_b64 v[18:19], v4
	v_add_nc_u32_e32 v6, 0x100, v6
	v_add_nc_u32_e32 v4, 0x800, v4
	s_delay_alu instid0(VALU_DEP_2)
	v_cmp_le_i32_e32 vcc_lo, s13, v6
	s_or_b32 s15, vcc_lo, s15
	s_wait_loadcnt_dscnt 0x0
	v_fmac_f64_e32 v[16:17], v[2:3], v[18:19]
	global_store_b64 v5, v[16:17], s[10:11] scale_offset
	s_wait_xcnt 0x0
	v_add_nc_u32_e32 v5, s14, v5
	s_and_not1_b32 exec_lo, exec_lo, s15
	s_cbranch_execnz .LBB7_22
	s_branch .LBB7_5
.LBB7_23:
	s_endpgm
	.section	.rodata,"a",@progbits
	.p2align	6, 0x0
	.amdhsa_kernel _ZN9rocsolver6v33100L23larf_right_kernel_smallILi256EdiPdEEvT1_S3_T2_lS3_lPKT0_lS4_lS3_l
		.amdhsa_group_segment_fixed_size 16448
		.amdhsa_private_segment_fixed_size 0
		.amdhsa_kernarg_size 88
		.amdhsa_user_sgpr_count 2
		.amdhsa_user_sgpr_dispatch_ptr 0
		.amdhsa_user_sgpr_queue_ptr 0
		.amdhsa_user_sgpr_kernarg_segment_ptr 1
		.amdhsa_user_sgpr_dispatch_id 0
		.amdhsa_user_sgpr_kernarg_preload_length 0
		.amdhsa_user_sgpr_kernarg_preload_offset 0
		.amdhsa_user_sgpr_private_segment_size 0
		.amdhsa_wavefront_size32 1
		.amdhsa_uses_dynamic_stack 0
		.amdhsa_enable_private_segment 0
		.amdhsa_system_sgpr_workgroup_id_x 1
		.amdhsa_system_sgpr_workgroup_id_y 1
		.amdhsa_system_sgpr_workgroup_id_z 0
		.amdhsa_system_sgpr_workgroup_info 0
		.amdhsa_system_vgpr_workitem_id 0
		.amdhsa_next_free_vgpr 24
		.amdhsa_next_free_sgpr 26
		.amdhsa_named_barrier_count 0
		.amdhsa_reserve_vcc 1
		.amdhsa_float_round_mode_32 0
		.amdhsa_float_round_mode_16_64 0
		.amdhsa_float_denorm_mode_32 3
		.amdhsa_float_denorm_mode_16_64 3
		.amdhsa_fp16_overflow 0
		.amdhsa_memory_ordered 1
		.amdhsa_forward_progress 1
		.amdhsa_inst_pref_size 10
		.amdhsa_round_robin_scheduling 0
		.amdhsa_exception_fp_ieee_invalid_op 0
		.amdhsa_exception_fp_denorm_src 0
		.amdhsa_exception_fp_ieee_div_zero 0
		.amdhsa_exception_fp_ieee_overflow 0
		.amdhsa_exception_fp_ieee_underflow 0
		.amdhsa_exception_fp_ieee_inexact 0
		.amdhsa_exception_int_div_zero 0
	.end_amdhsa_kernel
	.section	.text._ZN9rocsolver6v33100L23larf_right_kernel_smallILi256EdiPdEEvT1_S3_T2_lS3_lPKT0_lS4_lS3_l,"axG",@progbits,_ZN9rocsolver6v33100L23larf_right_kernel_smallILi256EdiPdEEvT1_S3_T2_lS3_lPKT0_lS4_lS3_l,comdat
.Lfunc_end7:
	.size	_ZN9rocsolver6v33100L23larf_right_kernel_smallILi256EdiPdEEvT1_S3_T2_lS3_lPKT0_lS4_lS3_l, .Lfunc_end7-_ZN9rocsolver6v33100L23larf_right_kernel_smallILi256EdiPdEEvT1_S3_T2_lS3_lPKT0_lS4_lS3_l
                                        ; -- End function
	.set _ZN9rocsolver6v33100L23larf_right_kernel_smallILi256EdiPdEEvT1_S3_T2_lS3_lPKT0_lS4_lS3_l.num_vgpr, 24
	.set _ZN9rocsolver6v33100L23larf_right_kernel_smallILi256EdiPdEEvT1_S3_T2_lS3_lPKT0_lS4_lS3_l.num_agpr, 0
	.set _ZN9rocsolver6v33100L23larf_right_kernel_smallILi256EdiPdEEvT1_S3_T2_lS3_lPKT0_lS4_lS3_l.numbered_sgpr, 26
	.set _ZN9rocsolver6v33100L23larf_right_kernel_smallILi256EdiPdEEvT1_S3_T2_lS3_lPKT0_lS4_lS3_l.num_named_barrier, 0
	.set _ZN9rocsolver6v33100L23larf_right_kernel_smallILi256EdiPdEEvT1_S3_T2_lS3_lPKT0_lS4_lS3_l.private_seg_size, 0
	.set _ZN9rocsolver6v33100L23larf_right_kernel_smallILi256EdiPdEEvT1_S3_T2_lS3_lPKT0_lS4_lS3_l.uses_vcc, 1
	.set _ZN9rocsolver6v33100L23larf_right_kernel_smallILi256EdiPdEEvT1_S3_T2_lS3_lPKT0_lS4_lS3_l.uses_flat_scratch, 0
	.set _ZN9rocsolver6v33100L23larf_right_kernel_smallILi256EdiPdEEvT1_S3_T2_lS3_lPKT0_lS4_lS3_l.has_dyn_sized_stack, 0
	.set _ZN9rocsolver6v33100L23larf_right_kernel_smallILi256EdiPdEEvT1_S3_T2_lS3_lPKT0_lS4_lS3_l.has_recursion, 0
	.set _ZN9rocsolver6v33100L23larf_right_kernel_smallILi256EdiPdEEvT1_S3_T2_lS3_lPKT0_lS4_lS3_l.has_indirect_call, 0
	.section	.AMDGPU.csdata,"",@progbits
; Kernel info:
; codeLenInByte = 1216
; TotalNumSgprs: 28
; NumVgprs: 24
; ScratchSize: 0
; MemoryBound: 0
; FloatMode: 240
; IeeeMode: 1
; LDSByteSize: 16448 bytes/workgroup (compile time only)
; SGPRBlocks: 0
; VGPRBlocks: 1
; NumSGPRsForWavesPerEU: 28
; NumVGPRsForWavesPerEU: 24
; NamedBarCnt: 0
; Occupancy: 16
; WaveLimiterHint : 0
; COMPUTE_PGM_RSRC2:SCRATCH_EN: 0
; COMPUTE_PGM_RSRC2:USER_SGPR: 2
; COMPUTE_PGM_RSRC2:TRAP_HANDLER: 0
; COMPUTE_PGM_RSRC2:TGID_X_EN: 1
; COMPUTE_PGM_RSRC2:TGID_Y_EN: 1
; COMPUTE_PGM_RSRC2:TGID_Z_EN: 0
; COMPUTE_PGM_RSRC2:TIDIG_COMP_CNT: 0
	.section	.text._ZN9rocsolver6v33100L23larf_right_kernel_smallILi512EdiPdEEvT1_S3_T2_lS3_lPKT0_lS4_lS3_l,"axG",@progbits,_ZN9rocsolver6v33100L23larf_right_kernel_smallILi512EdiPdEEvT1_S3_T2_lS3_lPKT0_lS4_lS3_l,comdat
	.globl	_ZN9rocsolver6v33100L23larf_right_kernel_smallILi512EdiPdEEvT1_S3_T2_lS3_lPKT0_lS4_lS3_l ; -- Begin function _ZN9rocsolver6v33100L23larf_right_kernel_smallILi512EdiPdEEvT1_S3_T2_lS3_lPKT0_lS4_lS3_l
	.p2align	8
	.type	_ZN9rocsolver6v33100L23larf_right_kernel_smallILi512EdiPdEEvT1_S3_T2_lS3_lPKT0_lS4_lS3_l,@function
_ZN9rocsolver6v33100L23larf_right_kernel_smallILi512EdiPdEEvT1_S3_T2_lS3_lPKT0_lS4_lS3_l: ; @_ZN9rocsolver6v33100L23larf_right_kernel_smallILi512EdiPdEEvT1_S3_T2_lS3_lPKT0_lS4_lS3_l
; %bb.0:
	s_clause 0x2
	s_load_b64 s[12:13], s[0:1], 0x0
	s_load_b256 s[4:11], s[0:1], 0x20
	s_load_b64 s[16:17], s[0:1], 0x40
	s_bfe_u32 s2, ttmp6, 0x4000c
	s_and_b32 s14, ttmp6, 15
	s_add_co_i32 s2, s2, 1
	s_getreg_b32 s3, hwreg(HW_REG_IB_STS2, 6, 4)
	s_mul_i32 s2, ttmp9, s2
	v_lshlrev_b32_e32 v1, 3, v0
	s_add_co_i32 s14, s14, s2
	s_cmp_eq_u32 s3, 0
	s_mov_b32 s18, 0
	s_cselect_b32 s14, ttmp9, s14
	s_delay_alu instid0(SALU_CYCLE_1)
	s_ashr_i32 s15, s14, 31
	s_wait_kmcnt 0x0
	v_cmp_gt_i32_e64 s2, s13, v0
	s_and_saveexec_b32 s19, s2
	s_cbranch_execz .LBB8_3
; %bb.1:
	s_clause 0x1
	s_load_b128 s[20:23], s[0:1], 0x8
	s_load_b32 s24, s[0:1], 0x18
	s_mul_u64 s[4:5], s[4:5], s[14:15]
	s_sub_co_i32 s25, 1, s13
	s_lshl_b64 s[4:5], s[4:5], 3
	v_dual_mov_b32 v4, v0 :: v_dual_lshlrev_b32 v3, 3, v0
	s_wait_kmcnt 0x0
	s_lshl_b64 s[22:23], s[22:23], 3
	s_mul_i32 s25, s24, s25
	s_cmp_lt_i32 s24, 1
	s_add_nc_u64 s[4:5], s[20:21], s[4:5]
	s_cselect_b32 s25, s25, 0
	s_add_nc_u64 s[4:5], s[4:5], s[22:23]
	v_mad_u32 v2, v0, s24, s25
	s_lshl_b32 s20, s24, 9
.LBB8_2:                                ; =>This Inner Loop Header: Depth=1
	global_load_b64 v[6:7], v2, s[4:5] scale_offset
	v_add_nc_u32_e32 v4, 0x200, v4
	s_wait_xcnt 0x0
	v_add_nc_u32_e32 v2, s20, v2
	s_delay_alu instid0(VALU_DEP_2)
	v_cmp_le_i32_e32 vcc_lo, s13, v4
	s_or_b32 s18, vcc_lo, s18
	s_wait_loadcnt 0x0
	ds_store_b64 v3, v[6:7]
	v_add_nc_u32_e32 v3, 0x1000, v3
	s_and_not1_b32 exec_lo, exec_lo, s18
	s_cbranch_execnz .LBB8_2
.LBB8_3:
	s_or_b32 exec_lo, exec_lo, s19
	s_bfe_u32 s4, ttmp6, 0x40010
	s_bfe_u32 s5, ttmp6, 0x40004
	s_add_co_i32 s4, s4, 1
	s_wait_dscnt 0x0
	s_mul_i32 s4, ttmp7, s4
	s_barrier_signal -1
	s_add_co_i32 s5, s5, s4
	s_cmp_eq_u32 s3, 0
	s_barrier_wait -1
	s_cselect_b32 s4, ttmp7, s5
	s_delay_alu instid0(SALU_CYCLE_1)
	s_cmp_ge_i32 s4, s12
	s_cbranch_scc1 .LBB8_23
; %bb.4:
	s_clause 0x1
	s_load_b64 s[18:19], s[0:1], 0x50
	s_load_b32 s5, s[0:1], 0x48
	s_mul_u64 s[8:9], s[8:9], s[14:15]
	v_dual_lshrrev_b32 v8, 2, v0 :: v_dual_bitop2_b32 v2, 31, v0 bitop3:0x40
	v_mbcnt_lo_u32_b32 v9, -1, 0
	s_lshl_b64 s[20:21], s[8:9], 3
	s_lshl_b64 s[16:17], s[16:17], 3
	s_wait_xcnt 0x0
	v_cmp_eq_u32_e64 s0, 0, v0
	v_dual_mov_b32 v10, 0x4008 :: v_dual_mov_b32 v19, 0
	v_mov_b32_e32 v11, 0x4018
	v_mov_b32_e32 v12, 0x4028
	;; [unrolled: 1-line block ×6, first 2 shown]
	v_cmp_eq_u32_e64 s1, 0, v2
	v_lshl_or_b32 v18, v9, 2, 64
	s_add_nc_u64 s[6:7], s[6:7], s[20:21]
	s_wait_kmcnt 0x0
	s_mul_u64 s[8:9], s[18:19], s[14:15]
	v_mul_lo_u32 v17, v0, s5
	s_lshl_b64 s[8:9], s[8:9], 3
	s_cmp_gt_i32 s13, 1
	s_add_nc_u64 s[8:9], s[10:11], s[8:9]
	s_cselect_b32 s3, -1, 0
	s_add_nc_u64 s[8:9], s[8:9], s[16:17]
	s_lshl_b32 s14, s5, 9
	s_branch .LBB8_6
.LBB8_5:                                ;   in Loop: Header=BB8_6 Depth=1
	s_or_b32 exec_lo, exec_lo, s5
	s_add_co_i32 s4, s4, 64
	s_delay_alu instid0(SALU_CYCLE_1)
	s_cmp_ge_i32 s4, s12
	s_cbranch_scc1 .LBB8_23
.LBB8_6:                                ; =>This Loop Header: Depth=1
                                        ;     Child Loop BB8_8 Depth 2
                                        ;     Child Loop BB8_22 Depth 2
	v_mov_b64_e32 v[2:3], 0
	s_ashr_i32 s5, s4, 31
	s_delay_alu instid0(SALU_CYCLE_1) | instskip(NEXT) | instid1(SALU_CYCLE_1)
	s_lshl_b64 s[10:11], s[4:5], 3
	s_add_nc_u64 s[10:11], s[8:9], s[10:11]
	s_and_saveexec_b32 s5, s2
	s_cbranch_execz .LBB8_10
; %bb.7:                                ;   in Loop: Header=BB8_6 Depth=1
	v_mov_b64_e32 v[2:3], 0
	v_dual_mov_b32 v4, v17 :: v_dual_mov_b32 v5, v1
	v_mov_b32_e32 v6, v0
	s_mov_b32 s15, 0
.LBB8_8:                                ;   Parent Loop BB8_6 Depth=1
                                        ; =>  This Inner Loop Header: Depth=2
	global_load_b64 v[20:21], v4, s[10:11] scale_offset
	ds_load_b64 v[22:23], v5
	v_add_nc_u32_e32 v6, 0x200, v6
	v_add_nc_u32_e32 v5, 0x1000, v5
	s_wait_xcnt 0x0
	v_add_nc_u32_e32 v4, s14, v4
	s_delay_alu instid0(VALU_DEP_3)
	v_cmp_le_i32_e32 vcc_lo, s13, v6
	s_or_b32 s15, vcc_lo, s15
	s_wait_loadcnt_dscnt 0x0
	v_fmac_f64_e32 v[2:3], v[22:23], v[20:21]
	s_and_not1_b32 exec_lo, exec_lo, s15
	s_cbranch_execnz .LBB8_8
; %bb.9:                                ;   in Loop: Header=BB8_6 Depth=1
	s_or_b32 exec_lo, exec_lo, s15
.LBB8_10:                               ;   in Loop: Header=BB8_6 Depth=1
	s_delay_alu instid0(SALU_CYCLE_1) | instskip(NEXT) | instid1(SALU_CYCLE_1)
	s_or_b32 exec_lo, exec_lo, s5
	s_and_b32 vcc_lo, exec_lo, s3
	s_cbranch_vccz .LBB8_17
; %bb.11:                               ;   in Loop: Header=BB8_6 Depth=1
	v_cmp_ne_u32_e32 vcc_lo, 31, v9
	v_add_co_ci_u32_e64 v4, null, 0, v9, vcc_lo
	v_cmp_gt_u32_e32 vcc_lo, 30, v9
	s_delay_alu instid0(VALU_DEP_2)
	v_lshlrev_b32_e32 v5, 2, v4
	v_cndmask_b32_e64 v6, 0, 2, vcc_lo
	v_cmp_gt_u32_e32 vcc_lo, 28, v9
	ds_bpermute_b32 v4, v5, v2
	ds_bpermute_b32 v5, v5, v3
	v_add_lshl_u32 v7, v6, v9, 2
	s_wait_dscnt 0x0
	v_add_f64_e32 v[4:5], v[2:3], v[4:5]
	ds_bpermute_b32 v6, v7, v4
	ds_bpermute_b32 v7, v7, v5
	s_wait_dscnt 0x0
	v_add_f64_e32 v[4:5], v[4:5], v[6:7]
	v_cndmask_b32_e64 v6, 0, 4, vcc_lo
	v_cmp_gt_u32_e32 vcc_lo, 24, v9
	s_delay_alu instid0(VALU_DEP_2)
	v_add_lshl_u32 v7, v6, v9, 2
	ds_bpermute_b32 v6, v7, v4
	ds_bpermute_b32 v7, v7, v5
	s_wait_dscnt 0x0
	v_add_f64_e32 v[4:5], v[4:5], v[6:7]
	v_cndmask_b32_e64 v6, 0, 8, vcc_lo
	s_delay_alu instid0(VALU_DEP_1)
	v_add_lshl_u32 v7, v6, v9, 2
	ds_bpermute_b32 v6, v7, v4
	ds_bpermute_b32 v7, v7, v5
	s_wait_dscnt 0x0
	v_add_f64_e32 v[4:5], v[4:5], v[6:7]
	ds_bpermute_b32 v6, v18, v4
	ds_bpermute_b32 v7, v18, v5
	s_wait_dscnt 0x0
	v_add_f64_e32 v[4:5], v[4:5], v[6:7]
	s_and_saveexec_b32 s5, s1
; %bb.12:                               ;   in Loop: Header=BB8_6 Depth=1
	ds_store_b64 v8, v[4:5] offset:16384
; %bb.13:                               ;   in Loop: Header=BB8_6 Depth=1
	s_or_b32 exec_lo, exec_lo, s5
	s_mov_b32 s15, 0
	s_mov_b32 s5, 0
	s_wait_dscnt 0x0
	s_barrier_signal -1
	s_barrier_wait -1
                                        ; implicit-def: $vgpr6_vgpr7
	s_and_saveexec_b32 s16, s0
	s_delay_alu instid0(SALU_CYCLE_1)
	s_xor_b32 s16, exec_lo, s16
	s_cbranch_execz .LBB8_15
; %bb.14:                               ;   in Loop: Header=BB8_6 Depth=1
	ds_load_2addr_b64 v[20:23], v10 offset1:1
	ds_load_2addr_b64 v[24:27], v11 offset1:1
	s_mov_b32 s5, exec_lo
	s_wait_dscnt 0x1
	v_add_f64_e32 v[4:5], v[4:5], v[20:21]
	s_delay_alu instid0(VALU_DEP_1) | instskip(SKIP_1) | instid1(VALU_DEP_1)
	v_add_f64_e32 v[4:5], v[4:5], v[22:23]
	s_wait_dscnt 0x0
	v_add_f64_e32 v[4:5], v[4:5], v[24:25]
	s_delay_alu instid0(VALU_DEP_1) | instskip(SKIP_4) | instid1(VALU_DEP_1)
	v_add_f64_e32 v[24:25], v[4:5], v[26:27]
	ds_load_2addr_b64 v[4:7], v12 offset1:1
	ds_load_2addr_b64 v[20:23], v13 offset1:1
	s_wait_dscnt 0x1
	v_add_f64_e32 v[4:5], v[24:25], v[4:5]
	v_add_f64_e32 v[4:5], v[4:5], v[6:7]
	s_wait_dscnt 0x0
	s_delay_alu instid0(VALU_DEP_1) | instskip(NEXT) | instid1(VALU_DEP_1)
	v_add_f64_e32 v[4:5], v[4:5], v[20:21]
	v_add_f64_e32 v[24:25], v[4:5], v[22:23]
	ds_load_2addr_b64 v[4:7], v14 offset1:1
	ds_load_2addr_b64 v[20:23], v15 offset1:1
	s_wait_dscnt 0x1
	v_add_f64_e32 v[4:5], v[24:25], v[4:5]
	s_delay_alu instid0(VALU_DEP_1) | instskip(SKIP_1) | instid1(VALU_DEP_1)
	v_add_f64_e32 v[4:5], v[4:5], v[6:7]
	s_wait_dscnt 0x0
	v_add_f64_e32 v[4:5], v[4:5], v[20:21]
	s_delay_alu instid0(VALU_DEP_1) | instskip(SKIP_4) | instid1(VALU_DEP_1)
	v_add_f64_e32 v[20:21], v[4:5], v[22:23]
	ds_load_2addr_b64 v[4:7], v16 offset1:1
	ds_load_b64 v[22:23], v19 offset:16504
	s_wait_dscnt 0x1
	v_add_f64_e32 v[4:5], v[20:21], v[4:5]
	v_add_f64_e32 v[4:5], v[4:5], v[6:7]
	s_wait_dscnt 0x0
	s_delay_alu instid0(VALU_DEP_1)
	v_add_f64_e32 v[6:7], v[4:5], v[22:23]
.LBB8_15:                               ;   in Loop: Header=BB8_6 Depth=1
	s_or_b32 exec_lo, exec_lo, s16
	s_delay_alu instid0(SALU_CYCLE_1)
	s_and_b32 vcc_lo, exec_lo, s15
	s_cbranch_vccnz .LBB8_18
.LBB8_16:                               ;   in Loop: Header=BB8_6 Depth=1
	s_delay_alu instid0(VALU_DEP_1)
	v_mov_b64_e32 v[2:3], v[6:7]
	s_and_saveexec_b32 s15, s5
	s_cbranch_execnz .LBB8_19
	s_branch .LBB8_20
.LBB8_17:                               ;   in Loop: Header=BB8_6 Depth=1
	s_mov_b32 s5, 0
                                        ; implicit-def: $vgpr6_vgpr7
	s_cbranch_execz .LBB8_16
.LBB8_18:                               ;   in Loop: Header=BB8_6 Depth=1
	s_and_not1_b32 s5, s5, exec_lo
	s_and_b32 s15, s0, exec_lo
	s_delay_alu instid0(SALU_CYCLE_1) | instskip(NEXT) | instid1(SALU_CYCLE_1)
	s_or_b32 s5, s5, s15
	s_and_saveexec_b32 s15, s5
.LBB8_19:                               ;   in Loop: Header=BB8_6 Depth=1
	ds_store_b64 v19, v[2:3] offset:16384
.LBB8_20:                               ;   in Loop: Header=BB8_6 Depth=1
	s_or_b32 exec_lo, exec_lo, s15
	s_wait_dscnt 0x0
	s_barrier_signal -1
	s_barrier_wait -1
	s_and_saveexec_b32 s5, s2
	s_cbranch_execz .LBB8_5
; %bb.21:                               ;   in Loop: Header=BB8_6 Depth=1
	global_load_b64 v[2:3], v19, s[6:7]
	ds_load_b64 v[4:5], v19 offset:16384
	v_mov_b32_e32 v6, v0
	s_mov_b32 s15, 0
	s_wait_loadcnt_dscnt 0x0
	v_mul_f64_e64 v[2:3], v[4:5], -v[2:3]
	v_dual_mov_b32 v4, v1 :: v_dual_mov_b32 v5, v17
.LBB8_22:                               ;   Parent Loop BB8_6 Depth=1
                                        ; =>  This Inner Loop Header: Depth=2
	global_load_b64 v[20:21], v5, s[10:11] scale_offset
	ds_load_b64 v[22:23], v4
	v_add_nc_u32_e32 v6, 0x200, v6
	v_add_nc_u32_e32 v4, 0x1000, v4
	s_delay_alu instid0(VALU_DEP_2)
	v_cmp_le_i32_e32 vcc_lo, s13, v6
	s_or_b32 s15, vcc_lo, s15
	s_wait_loadcnt_dscnt 0x0
	v_fmac_f64_e32 v[20:21], v[2:3], v[22:23]
	global_store_b64 v5, v[20:21], s[10:11] scale_offset
	s_wait_xcnt 0x0
	v_add_nc_u32_e32 v5, s14, v5
	s_and_not1_b32 exec_lo, exec_lo, s15
	s_cbranch_execnz .LBB8_22
	s_branch .LBB8_5
.LBB8_23:
	s_endpgm
	.section	.rodata,"a",@progbits
	.p2align	6, 0x0
	.amdhsa_kernel _ZN9rocsolver6v33100L23larf_right_kernel_smallILi512EdiPdEEvT1_S3_T2_lS3_lPKT0_lS4_lS3_l
		.amdhsa_group_segment_fixed_size 16512
		.amdhsa_private_segment_fixed_size 0
		.amdhsa_kernarg_size 88
		.amdhsa_user_sgpr_count 2
		.amdhsa_user_sgpr_dispatch_ptr 0
		.amdhsa_user_sgpr_queue_ptr 0
		.amdhsa_user_sgpr_kernarg_segment_ptr 1
		.amdhsa_user_sgpr_dispatch_id 0
		.amdhsa_user_sgpr_kernarg_preload_length 0
		.amdhsa_user_sgpr_kernarg_preload_offset 0
		.amdhsa_user_sgpr_private_segment_size 0
		.amdhsa_wavefront_size32 1
		.amdhsa_uses_dynamic_stack 0
		.amdhsa_enable_private_segment 0
		.amdhsa_system_sgpr_workgroup_id_x 1
		.amdhsa_system_sgpr_workgroup_id_y 1
		.amdhsa_system_sgpr_workgroup_id_z 0
		.amdhsa_system_sgpr_workgroup_info 0
		.amdhsa_system_vgpr_workitem_id 0
		.amdhsa_next_free_vgpr 28
		.amdhsa_next_free_sgpr 26
		.amdhsa_named_barrier_count 0
		.amdhsa_reserve_vcc 1
		.amdhsa_float_round_mode_32 0
		.amdhsa_float_round_mode_16_64 0
		.amdhsa_float_denorm_mode_32 3
		.amdhsa_float_denorm_mode_16_64 3
		.amdhsa_fp16_overflow 0
		.amdhsa_memory_ordered 1
		.amdhsa_forward_progress 1
		.amdhsa_inst_pref_size 11
		.amdhsa_round_robin_scheduling 0
		.amdhsa_exception_fp_ieee_invalid_op 0
		.amdhsa_exception_fp_denorm_src 0
		.amdhsa_exception_fp_ieee_div_zero 0
		.amdhsa_exception_fp_ieee_overflow 0
		.amdhsa_exception_fp_ieee_underflow 0
		.amdhsa_exception_fp_ieee_inexact 0
		.amdhsa_exception_int_div_zero 0
	.end_amdhsa_kernel
	.section	.text._ZN9rocsolver6v33100L23larf_right_kernel_smallILi512EdiPdEEvT1_S3_T2_lS3_lPKT0_lS4_lS3_l,"axG",@progbits,_ZN9rocsolver6v33100L23larf_right_kernel_smallILi512EdiPdEEvT1_S3_T2_lS3_lPKT0_lS4_lS3_l,comdat
.Lfunc_end8:
	.size	_ZN9rocsolver6v33100L23larf_right_kernel_smallILi512EdiPdEEvT1_S3_T2_lS3_lPKT0_lS4_lS3_l, .Lfunc_end8-_ZN9rocsolver6v33100L23larf_right_kernel_smallILi512EdiPdEEvT1_S3_T2_lS3_lPKT0_lS4_lS3_l
                                        ; -- End function
	.set _ZN9rocsolver6v33100L23larf_right_kernel_smallILi512EdiPdEEvT1_S3_T2_lS3_lPKT0_lS4_lS3_l.num_vgpr, 28
	.set _ZN9rocsolver6v33100L23larf_right_kernel_smallILi512EdiPdEEvT1_S3_T2_lS3_lPKT0_lS4_lS3_l.num_agpr, 0
	.set _ZN9rocsolver6v33100L23larf_right_kernel_smallILi512EdiPdEEvT1_S3_T2_lS3_lPKT0_lS4_lS3_l.numbered_sgpr, 26
	.set _ZN9rocsolver6v33100L23larf_right_kernel_smallILi512EdiPdEEvT1_S3_T2_lS3_lPKT0_lS4_lS3_l.num_named_barrier, 0
	.set _ZN9rocsolver6v33100L23larf_right_kernel_smallILi512EdiPdEEvT1_S3_T2_lS3_lPKT0_lS4_lS3_l.private_seg_size, 0
	.set _ZN9rocsolver6v33100L23larf_right_kernel_smallILi512EdiPdEEvT1_S3_T2_lS3_lPKT0_lS4_lS3_l.uses_vcc, 1
	.set _ZN9rocsolver6v33100L23larf_right_kernel_smallILi512EdiPdEEvT1_S3_T2_lS3_lPKT0_lS4_lS3_l.uses_flat_scratch, 0
	.set _ZN9rocsolver6v33100L23larf_right_kernel_smallILi512EdiPdEEvT1_S3_T2_lS3_lPKT0_lS4_lS3_l.has_dyn_sized_stack, 0
	.set _ZN9rocsolver6v33100L23larf_right_kernel_smallILi512EdiPdEEvT1_S3_T2_lS3_lPKT0_lS4_lS3_l.has_recursion, 0
	.set _ZN9rocsolver6v33100L23larf_right_kernel_smallILi512EdiPdEEvT1_S3_T2_lS3_lPKT0_lS4_lS3_l.has_indirect_call, 0
	.section	.AMDGPU.csdata,"",@progbits
; Kernel info:
; codeLenInByte = 1340
; TotalNumSgprs: 28
; NumVgprs: 28
; ScratchSize: 0
; MemoryBound: 0
; FloatMode: 240
; IeeeMode: 1
; LDSByteSize: 16512 bytes/workgroup (compile time only)
; SGPRBlocks: 0
; VGPRBlocks: 1
; NumSGPRsForWavesPerEU: 28
; NumVGPRsForWavesPerEU: 28
; NamedBarCnt: 0
; Occupancy: 16
; WaveLimiterHint : 0
; COMPUTE_PGM_RSRC2:SCRATCH_EN: 0
; COMPUTE_PGM_RSRC2:USER_SGPR: 2
; COMPUTE_PGM_RSRC2:TRAP_HANDLER: 0
; COMPUTE_PGM_RSRC2:TGID_X_EN: 1
; COMPUTE_PGM_RSRC2:TGID_Y_EN: 1
; COMPUTE_PGM_RSRC2:TGID_Z_EN: 0
; COMPUTE_PGM_RSRC2:TIDIG_COMP_CNT: 0
	.section	.text._ZN9rocsolver6v33100L23larf_right_kernel_smallILi1024EdiPdEEvT1_S3_T2_lS3_lPKT0_lS4_lS3_l,"axG",@progbits,_ZN9rocsolver6v33100L23larf_right_kernel_smallILi1024EdiPdEEvT1_S3_T2_lS3_lPKT0_lS4_lS3_l,comdat
	.globl	_ZN9rocsolver6v33100L23larf_right_kernel_smallILi1024EdiPdEEvT1_S3_T2_lS3_lPKT0_lS4_lS3_l ; -- Begin function _ZN9rocsolver6v33100L23larf_right_kernel_smallILi1024EdiPdEEvT1_S3_T2_lS3_lPKT0_lS4_lS3_l
	.p2align	8
	.type	_ZN9rocsolver6v33100L23larf_right_kernel_smallILi1024EdiPdEEvT1_S3_T2_lS3_lPKT0_lS4_lS3_l,@function
_ZN9rocsolver6v33100L23larf_right_kernel_smallILi1024EdiPdEEvT1_S3_T2_lS3_lPKT0_lS4_lS3_l: ; @_ZN9rocsolver6v33100L23larf_right_kernel_smallILi1024EdiPdEEvT1_S3_T2_lS3_lPKT0_lS4_lS3_l
; %bb.0:
	s_clause 0x2
	s_load_b64 s[12:13], s[0:1], 0x0
	s_load_b256 s[4:11], s[0:1], 0x20
	s_load_b64 s[16:17], s[0:1], 0x40
	s_bfe_u32 s2, ttmp6, 0x4000c
	s_and_b32 s14, ttmp6, 15
	s_add_co_i32 s2, s2, 1
	s_getreg_b32 s3, hwreg(HW_REG_IB_STS2, 6, 4)
	s_mul_i32 s2, ttmp9, s2
	v_lshlrev_b32_e32 v1, 3, v0
	s_add_co_i32 s14, s14, s2
	s_cmp_eq_u32 s3, 0
	s_mov_b32 s18, 0
	s_cselect_b32 s14, ttmp9, s14
	s_delay_alu instid0(SALU_CYCLE_1)
	s_ashr_i32 s15, s14, 31
	s_wait_kmcnt 0x0
	v_cmp_gt_i32_e64 s2, s13, v0
	s_and_saveexec_b32 s19, s2
	s_cbranch_execz .LBB9_3
; %bb.1:
	s_clause 0x1
	s_load_b128 s[20:23], s[0:1], 0x8
	s_load_b32 s24, s[0:1], 0x18
	s_mul_u64 s[4:5], s[4:5], s[14:15]
	s_sub_co_i32 s25, 1, s13
	s_lshl_b64 s[4:5], s[4:5], 3
	v_dual_mov_b32 v4, v0 :: v_dual_lshlrev_b32 v3, 3, v0
	s_wait_kmcnt 0x0
	s_lshl_b64 s[22:23], s[22:23], 3
	s_mul_i32 s25, s24, s25
	s_cmp_lt_i32 s24, 1
	s_add_nc_u64 s[4:5], s[20:21], s[4:5]
	s_cselect_b32 s25, s25, 0
	s_add_nc_u64 s[4:5], s[4:5], s[22:23]
	v_mad_u32 v2, v0, s24, s25
	s_lshl_b32 s20, s24, 10
.LBB9_2:                                ; =>This Inner Loop Header: Depth=1
	global_load_b64 v[6:7], v2, s[4:5] scale_offset
	v_add_nc_u32_e32 v4, 0x400, v4
	s_wait_xcnt 0x0
	v_add_nc_u32_e32 v2, s20, v2
	s_delay_alu instid0(VALU_DEP_2)
	v_cmp_le_i32_e32 vcc_lo, s13, v4
	s_or_b32 s18, vcc_lo, s18
	s_wait_loadcnt 0x0
	ds_store_b64 v3, v[6:7]
	v_add_nc_u32_e32 v3, 0x2000, v3
	s_and_not1_b32 exec_lo, exec_lo, s18
	s_cbranch_execnz .LBB9_2
.LBB9_3:
	s_or_b32 exec_lo, exec_lo, s19
	s_bfe_u32 s4, ttmp6, 0x40010
	s_bfe_u32 s5, ttmp6, 0x40004
	s_add_co_i32 s4, s4, 1
	s_wait_dscnt 0x0
	s_mul_i32 s4, ttmp7, s4
	s_barrier_signal -1
	s_add_co_i32 s5, s5, s4
	s_cmp_eq_u32 s3, 0
	s_barrier_wait -1
	s_cselect_b32 s4, ttmp7, s5
	s_delay_alu instid0(SALU_CYCLE_1)
	s_cmp_ge_i32 s4, s12
	s_cbranch_scc1 .LBB9_23
; %bb.4:
	s_clause 0x1
	s_load_b64 s[18:19], s[0:1], 0x50
	s_load_b32 s5, s[0:1], 0x48
	s_mul_u64 s[8:9], s[8:9], s[14:15]
	v_dual_lshrrev_b32 v8, 2, v0 :: v_dual_bitop2_b32 v2, 31, v0 bitop3:0x40
	v_mbcnt_lo_u32_b32 v9, -1, 0
	s_lshl_b64 s[20:21], s[8:9], 3
	s_lshl_b64 s[16:17], s[16:17], 3
	s_wait_xcnt 0x0
	v_cmp_eq_u32_e64 s0, 0, v0
	v_dual_mov_b32 v10, 0x4008 :: v_dual_mov_b32 v27, 0
	v_mov_b32_e32 v11, 0x4018
	v_mov_b32_e32 v12, 0x4028
	;; [unrolled: 1-line block ×9, first 2 shown]
	s_wait_kmcnt 0x0
	s_mul_u64 s[8:9], s[18:19], s[14:15]
	v_mul_lo_u32 v21, v0, s5
	s_lshl_b64 s[8:9], s[8:9], 3
	v_cmp_eq_u32_e64 s1, 0, v2
	v_lshl_or_b32 v20, v9, 2, 64
	v_mov_b32_e32 v22, 0x40a8
	v_mov_b32_e32 v23, 0x40b8
	;; [unrolled: 1-line block ×5, first 2 shown]
	s_add_nc_u64 s[8:9], s[10:11], s[8:9]
	s_cmp_gt_i32 s13, 1
	s_add_nc_u64 s[8:9], s[8:9], s[16:17]
	s_add_nc_u64 s[6:7], s[6:7], s[20:21]
	s_cselect_b32 s3, -1, 0
	s_lshl_b32 s14, s5, 10
	s_branch .LBB9_6
.LBB9_5:                                ;   in Loop: Header=BB9_6 Depth=1
	s_or_b32 exec_lo, exec_lo, s5
	s_add_co_i32 s4, s4, 64
	s_delay_alu instid0(SALU_CYCLE_1)
	s_cmp_ge_i32 s4, s12
	s_cbranch_scc1 .LBB9_23
.LBB9_6:                                ; =>This Loop Header: Depth=1
                                        ;     Child Loop BB9_8 Depth 2
                                        ;     Child Loop BB9_22 Depth 2
	v_mov_b64_e32 v[2:3], 0
	s_ashr_i32 s5, s4, 31
	s_delay_alu instid0(SALU_CYCLE_1) | instskip(NEXT) | instid1(SALU_CYCLE_1)
	s_lshl_b64 s[10:11], s[4:5], 3
	s_add_nc_u64 s[10:11], s[8:9], s[10:11]
	s_and_saveexec_b32 s5, s2
	s_cbranch_execz .LBB9_10
; %bb.7:                                ;   in Loop: Header=BB9_6 Depth=1
	v_mov_b64_e32 v[2:3], 0
	v_dual_mov_b32 v4, v21 :: v_dual_mov_b32 v5, v1
	v_mov_b32_e32 v6, v0
	s_mov_b32 s15, 0
.LBB9_8:                                ;   Parent Loop BB9_6 Depth=1
                                        ; =>  This Inner Loop Header: Depth=2
	global_load_b64 v[28:29], v4, s[10:11] scale_offset
	ds_load_b64 v[30:31], v5
	v_add_nc_u32_e32 v6, 0x400, v6
	v_add_nc_u32_e32 v5, 0x2000, v5
	s_wait_xcnt 0x0
	v_add_nc_u32_e32 v4, s14, v4
	s_delay_alu instid0(VALU_DEP_3)
	v_cmp_le_i32_e32 vcc_lo, s13, v6
	s_or_b32 s15, vcc_lo, s15
	s_wait_loadcnt_dscnt 0x0
	v_fmac_f64_e32 v[2:3], v[30:31], v[28:29]
	s_and_not1_b32 exec_lo, exec_lo, s15
	s_cbranch_execnz .LBB9_8
; %bb.9:                                ;   in Loop: Header=BB9_6 Depth=1
	s_or_b32 exec_lo, exec_lo, s15
.LBB9_10:                               ;   in Loop: Header=BB9_6 Depth=1
	s_delay_alu instid0(SALU_CYCLE_1) | instskip(NEXT) | instid1(SALU_CYCLE_1)
	s_or_b32 exec_lo, exec_lo, s5
	s_and_b32 vcc_lo, exec_lo, s3
	s_cbranch_vccz .LBB9_17
; %bb.11:                               ;   in Loop: Header=BB9_6 Depth=1
	v_cmp_ne_u32_e32 vcc_lo, 31, v9
	v_add_co_ci_u32_e64 v4, null, 0, v9, vcc_lo
	v_cmp_gt_u32_e32 vcc_lo, 30, v9
	s_delay_alu instid0(VALU_DEP_2)
	v_lshlrev_b32_e32 v5, 2, v4
	v_cndmask_b32_e64 v6, 0, 2, vcc_lo
	v_cmp_gt_u32_e32 vcc_lo, 28, v9
	ds_bpermute_b32 v4, v5, v2
	ds_bpermute_b32 v5, v5, v3
	v_add_lshl_u32 v7, v6, v9, 2
	s_wait_dscnt 0x0
	v_add_f64_e32 v[4:5], v[2:3], v[4:5]
	ds_bpermute_b32 v6, v7, v4
	ds_bpermute_b32 v7, v7, v5
	s_wait_dscnt 0x0
	v_add_f64_e32 v[4:5], v[4:5], v[6:7]
	v_cndmask_b32_e64 v6, 0, 4, vcc_lo
	v_cmp_gt_u32_e32 vcc_lo, 24, v9
	s_delay_alu instid0(VALU_DEP_2)
	v_add_lshl_u32 v7, v6, v9, 2
	ds_bpermute_b32 v6, v7, v4
	ds_bpermute_b32 v7, v7, v5
	s_wait_dscnt 0x0
	v_add_f64_e32 v[4:5], v[4:5], v[6:7]
	v_cndmask_b32_e64 v6, 0, 8, vcc_lo
	s_delay_alu instid0(VALU_DEP_1)
	v_add_lshl_u32 v7, v6, v9, 2
	ds_bpermute_b32 v6, v7, v4
	ds_bpermute_b32 v7, v7, v5
	s_wait_dscnt 0x0
	v_add_f64_e32 v[4:5], v[4:5], v[6:7]
	ds_bpermute_b32 v6, v20, v4
	ds_bpermute_b32 v7, v20, v5
	s_wait_dscnt 0x0
	v_add_f64_e32 v[4:5], v[4:5], v[6:7]
	s_and_saveexec_b32 s5, s1
; %bb.12:                               ;   in Loop: Header=BB9_6 Depth=1
	ds_store_b64 v8, v[4:5] offset:16384
; %bb.13:                               ;   in Loop: Header=BB9_6 Depth=1
	s_or_b32 exec_lo, exec_lo, s5
	s_mov_b32 s15, 0
	s_mov_b32 s5, 0
	s_wait_dscnt 0x0
	s_barrier_signal -1
	s_barrier_wait -1
                                        ; implicit-def: $vgpr6_vgpr7
	s_and_saveexec_b32 s16, s0
	s_delay_alu instid0(SALU_CYCLE_1)
	s_xor_b32 s16, exec_lo, s16
	s_cbranch_execz .LBB9_15
; %bb.14:                               ;   in Loop: Header=BB9_6 Depth=1
	ds_load_2addr_b64 v[28:31], v10 offset1:1
	ds_load_2addr_b64 v[32:35], v11 offset1:1
	s_mov_b32 s5, exec_lo
	s_wait_dscnt 0x1
	v_add_f64_e32 v[4:5], v[4:5], v[28:29]
	s_delay_alu instid0(VALU_DEP_1) | instskip(SKIP_1) | instid1(VALU_DEP_1)
	v_add_f64_e32 v[4:5], v[4:5], v[30:31]
	s_wait_dscnt 0x0
	v_add_f64_e32 v[4:5], v[4:5], v[32:33]
	s_delay_alu instid0(VALU_DEP_1) | instskip(SKIP_4) | instid1(VALU_DEP_1)
	v_add_f64_e32 v[32:33], v[4:5], v[34:35]
	ds_load_2addr_b64 v[4:7], v12 offset1:1
	ds_load_2addr_b64 v[28:31], v13 offset1:1
	s_wait_dscnt 0x1
	v_add_f64_e32 v[4:5], v[32:33], v[4:5]
	v_add_f64_e32 v[4:5], v[4:5], v[6:7]
	s_wait_dscnt 0x0
	s_delay_alu instid0(VALU_DEP_1) | instskip(NEXT) | instid1(VALU_DEP_1)
	v_add_f64_e32 v[4:5], v[4:5], v[28:29]
	v_add_f64_e32 v[32:33], v[4:5], v[30:31]
	ds_load_2addr_b64 v[4:7], v14 offset1:1
	ds_load_2addr_b64 v[28:31], v15 offset1:1
	s_wait_dscnt 0x1
	v_add_f64_e32 v[4:5], v[32:33], v[4:5]
	s_delay_alu instid0(VALU_DEP_1) | instskip(SKIP_1) | instid1(VALU_DEP_1)
	v_add_f64_e32 v[4:5], v[4:5], v[6:7]
	s_wait_dscnt 0x0
	v_add_f64_e32 v[4:5], v[4:5], v[28:29]
	s_delay_alu instid0(VALU_DEP_1) | instskip(SKIP_4) | instid1(VALU_DEP_1)
	v_add_f64_e32 v[32:33], v[4:5], v[30:31]
	ds_load_2addr_b64 v[4:7], v16 offset1:1
	ds_load_2addr_b64 v[28:31], v17 offset1:1
	s_wait_dscnt 0x1
	v_add_f64_e32 v[4:5], v[32:33], v[4:5]
	v_add_f64_e32 v[4:5], v[4:5], v[6:7]
	s_wait_dscnt 0x0
	s_delay_alu instid0(VALU_DEP_1) | instskip(NEXT) | instid1(VALU_DEP_1)
	v_add_f64_e32 v[4:5], v[4:5], v[28:29]
	v_add_f64_e32 v[32:33], v[4:5], v[30:31]
	ds_load_2addr_b64 v[4:7], v18 offset1:1
	ds_load_2addr_b64 v[28:31], v19 offset1:1
	;; [unrolled: 19-line block ×3, first 2 shown]
	s_wait_dscnt 0x1
	v_add_f64_e32 v[4:5], v[32:33], v[4:5]
	s_delay_alu instid0(VALU_DEP_1) | instskip(SKIP_1) | instid1(VALU_DEP_1)
	v_add_f64_e32 v[4:5], v[4:5], v[6:7]
	s_wait_dscnt 0x0
	v_add_f64_e32 v[4:5], v[4:5], v[28:29]
	s_delay_alu instid0(VALU_DEP_1) | instskip(SKIP_4) | instid1(VALU_DEP_1)
	v_add_f64_e32 v[28:29], v[4:5], v[30:31]
	ds_load_2addr_b64 v[4:7], v26 offset1:1
	ds_load_b64 v[30:31], v27 offset:16632
	s_wait_dscnt 0x1
	v_add_f64_e32 v[4:5], v[28:29], v[4:5]
	v_add_f64_e32 v[4:5], v[4:5], v[6:7]
	s_wait_dscnt 0x0
	s_delay_alu instid0(VALU_DEP_1)
	v_add_f64_e32 v[6:7], v[4:5], v[30:31]
.LBB9_15:                               ;   in Loop: Header=BB9_6 Depth=1
	s_or_b32 exec_lo, exec_lo, s16
	s_delay_alu instid0(SALU_CYCLE_1)
	s_and_b32 vcc_lo, exec_lo, s15
	s_cbranch_vccnz .LBB9_18
.LBB9_16:                               ;   in Loop: Header=BB9_6 Depth=1
	s_delay_alu instid0(VALU_DEP_1)
	v_mov_b64_e32 v[2:3], v[6:7]
	s_and_saveexec_b32 s15, s5
	s_cbranch_execnz .LBB9_19
	s_branch .LBB9_20
.LBB9_17:                               ;   in Loop: Header=BB9_6 Depth=1
	s_mov_b32 s5, 0
                                        ; implicit-def: $vgpr6_vgpr7
	s_cbranch_execz .LBB9_16
.LBB9_18:                               ;   in Loop: Header=BB9_6 Depth=1
	s_and_not1_b32 s5, s5, exec_lo
	s_and_b32 s15, s0, exec_lo
	s_delay_alu instid0(SALU_CYCLE_1) | instskip(NEXT) | instid1(SALU_CYCLE_1)
	s_or_b32 s5, s5, s15
	s_and_saveexec_b32 s15, s5
.LBB9_19:                               ;   in Loop: Header=BB9_6 Depth=1
	ds_store_b64 v27, v[2:3] offset:16384
.LBB9_20:                               ;   in Loop: Header=BB9_6 Depth=1
	s_or_b32 exec_lo, exec_lo, s15
	s_wait_dscnt 0x0
	s_barrier_signal -1
	s_barrier_wait -1
	s_and_saveexec_b32 s5, s2
	s_cbranch_execz .LBB9_5
; %bb.21:                               ;   in Loop: Header=BB9_6 Depth=1
	global_load_b64 v[2:3], v27, s[6:7]
	ds_load_b64 v[4:5], v27 offset:16384
	v_mov_b32_e32 v6, v0
	s_mov_b32 s15, 0
	s_wait_loadcnt_dscnt 0x0
	v_mul_f64_e64 v[2:3], v[4:5], -v[2:3]
	v_dual_mov_b32 v4, v1 :: v_dual_mov_b32 v5, v21
.LBB9_22:                               ;   Parent Loop BB9_6 Depth=1
                                        ; =>  This Inner Loop Header: Depth=2
	global_load_b64 v[28:29], v5, s[10:11] scale_offset
	ds_load_b64 v[30:31], v4
	v_add_nc_u32_e32 v6, 0x400, v6
	v_add_nc_u32_e32 v4, 0x2000, v4
	s_delay_alu instid0(VALU_DEP_2)
	v_cmp_le_i32_e32 vcc_lo, s13, v6
	s_or_b32 s15, vcc_lo, s15
	s_wait_loadcnt_dscnt 0x0
	v_fmac_f64_e32 v[28:29], v[2:3], v[30:31]
	global_store_b64 v5, v[28:29], s[10:11] scale_offset
	s_wait_xcnt 0x0
	v_add_nc_u32_e32 v5, s14, v5
	s_and_not1_b32 exec_lo, exec_lo, s15
	s_cbranch_execnz .LBB9_22
	s_branch .LBB9_5
.LBB9_23:
	s_endpgm
	.section	.rodata,"a",@progbits
	.p2align	6, 0x0
	.amdhsa_kernel _ZN9rocsolver6v33100L23larf_right_kernel_smallILi1024EdiPdEEvT1_S3_T2_lS3_lPKT0_lS4_lS3_l
		.amdhsa_group_segment_fixed_size 16640
		.amdhsa_private_segment_fixed_size 0
		.amdhsa_kernarg_size 88
		.amdhsa_user_sgpr_count 2
		.amdhsa_user_sgpr_dispatch_ptr 0
		.amdhsa_user_sgpr_queue_ptr 0
		.amdhsa_user_sgpr_kernarg_segment_ptr 1
		.amdhsa_user_sgpr_dispatch_id 0
		.amdhsa_user_sgpr_kernarg_preload_length 0
		.amdhsa_user_sgpr_kernarg_preload_offset 0
		.amdhsa_user_sgpr_private_segment_size 0
		.amdhsa_wavefront_size32 1
		.amdhsa_uses_dynamic_stack 0
		.amdhsa_enable_private_segment 0
		.amdhsa_system_sgpr_workgroup_id_x 1
		.amdhsa_system_sgpr_workgroup_id_y 1
		.amdhsa_system_sgpr_workgroup_id_z 0
		.amdhsa_system_sgpr_workgroup_info 0
		.amdhsa_system_vgpr_workitem_id 0
		.amdhsa_next_free_vgpr 36
		.amdhsa_next_free_sgpr 26
		.amdhsa_named_barrier_count 0
		.amdhsa_reserve_vcc 1
		.amdhsa_float_round_mode_32 0
		.amdhsa_float_round_mode_16_64 0
		.amdhsa_float_denorm_mode_32 3
		.amdhsa_float_denorm_mode_16_64 3
		.amdhsa_fp16_overflow 0
		.amdhsa_memory_ordered 1
		.amdhsa_forward_progress 1
		.amdhsa_inst_pref_size 13
		.amdhsa_round_robin_scheduling 0
		.amdhsa_exception_fp_ieee_invalid_op 0
		.amdhsa_exception_fp_denorm_src 0
		.amdhsa_exception_fp_ieee_div_zero 0
		.amdhsa_exception_fp_ieee_overflow 0
		.amdhsa_exception_fp_ieee_underflow 0
		.amdhsa_exception_fp_ieee_inexact 0
		.amdhsa_exception_int_div_zero 0
	.end_amdhsa_kernel
	.section	.text._ZN9rocsolver6v33100L23larf_right_kernel_smallILi1024EdiPdEEvT1_S3_T2_lS3_lPKT0_lS4_lS3_l,"axG",@progbits,_ZN9rocsolver6v33100L23larf_right_kernel_smallILi1024EdiPdEEvT1_S3_T2_lS3_lPKT0_lS4_lS3_l,comdat
.Lfunc_end9:
	.size	_ZN9rocsolver6v33100L23larf_right_kernel_smallILi1024EdiPdEEvT1_S3_T2_lS3_lPKT0_lS4_lS3_l, .Lfunc_end9-_ZN9rocsolver6v33100L23larf_right_kernel_smallILi1024EdiPdEEvT1_S3_T2_lS3_lPKT0_lS4_lS3_l
                                        ; -- End function
	.set _ZN9rocsolver6v33100L23larf_right_kernel_smallILi1024EdiPdEEvT1_S3_T2_lS3_lPKT0_lS4_lS3_l.num_vgpr, 36
	.set _ZN9rocsolver6v33100L23larf_right_kernel_smallILi1024EdiPdEEvT1_S3_T2_lS3_lPKT0_lS4_lS3_l.num_agpr, 0
	.set _ZN9rocsolver6v33100L23larf_right_kernel_smallILi1024EdiPdEEvT1_S3_T2_lS3_lPKT0_lS4_lS3_l.numbered_sgpr, 26
	.set _ZN9rocsolver6v33100L23larf_right_kernel_smallILi1024EdiPdEEvT1_S3_T2_lS3_lPKT0_lS4_lS3_l.num_named_barrier, 0
	.set _ZN9rocsolver6v33100L23larf_right_kernel_smallILi1024EdiPdEEvT1_S3_T2_lS3_lPKT0_lS4_lS3_l.private_seg_size, 0
	.set _ZN9rocsolver6v33100L23larf_right_kernel_smallILi1024EdiPdEEvT1_S3_T2_lS3_lPKT0_lS4_lS3_l.uses_vcc, 1
	.set _ZN9rocsolver6v33100L23larf_right_kernel_smallILi1024EdiPdEEvT1_S3_T2_lS3_lPKT0_lS4_lS3_l.uses_flat_scratch, 0
	.set _ZN9rocsolver6v33100L23larf_right_kernel_smallILi1024EdiPdEEvT1_S3_T2_lS3_lPKT0_lS4_lS3_l.has_dyn_sized_stack, 0
	.set _ZN9rocsolver6v33100L23larf_right_kernel_smallILi1024EdiPdEEvT1_S3_T2_lS3_lPKT0_lS4_lS3_l.has_recursion, 0
	.set _ZN9rocsolver6v33100L23larf_right_kernel_smallILi1024EdiPdEEvT1_S3_T2_lS3_lPKT0_lS4_lS3_l.has_indirect_call, 0
	.section	.AMDGPU.csdata,"",@progbits
; Kernel info:
; codeLenInByte = 1588
; TotalNumSgprs: 28
; NumVgprs: 36
; ScratchSize: 0
; MemoryBound: 0
; FloatMode: 240
; IeeeMode: 1
; LDSByteSize: 16640 bytes/workgroup (compile time only)
; SGPRBlocks: 0
; VGPRBlocks: 2
; NumSGPRsForWavesPerEU: 28
; NumVGPRsForWavesPerEU: 36
; NamedBarCnt: 0
; Occupancy: 16
; WaveLimiterHint : 0
; COMPUTE_PGM_RSRC2:SCRATCH_EN: 0
; COMPUTE_PGM_RSRC2:USER_SGPR: 2
; COMPUTE_PGM_RSRC2:TRAP_HANDLER: 0
; COMPUTE_PGM_RSRC2:TGID_X_EN: 1
; COMPUTE_PGM_RSRC2:TGID_Y_EN: 1
; COMPUTE_PGM_RSRC2:TGID_Z_EN: 0
; COMPUTE_PGM_RSRC2:TIDIG_COMP_CNT: 0
	.section	.text._ZN9rocsolver6v33100L22larf_left_kernel_smallILi64EdiPKPdEEvT1_S5_T2_lS5_lPKT0_lS6_lS5_l,"axG",@progbits,_ZN9rocsolver6v33100L22larf_left_kernel_smallILi64EdiPKPdEEvT1_S5_T2_lS5_lPKT0_lS6_lS5_l,comdat
	.globl	_ZN9rocsolver6v33100L22larf_left_kernel_smallILi64EdiPKPdEEvT1_S5_T2_lS5_lPKT0_lS6_lS5_l ; -- Begin function _ZN9rocsolver6v33100L22larf_left_kernel_smallILi64EdiPKPdEEvT1_S5_T2_lS5_lPKT0_lS6_lS5_l
	.p2align	8
	.type	_ZN9rocsolver6v33100L22larf_left_kernel_smallILi64EdiPKPdEEvT1_S5_T2_lS5_lPKT0_lS6_lS5_l,@function
_ZN9rocsolver6v33100L22larf_left_kernel_smallILi64EdiPKPdEEvT1_S5_T2_lS5_lPKT0_lS6_lS5_l: ; @_ZN9rocsolver6v33100L22larf_left_kernel_smallILi64EdiPKPdEEvT1_S5_T2_lS5_lPKT0_lS6_lS5_l
; %bb.0:
	s_load_b256 s[4:11], s[0:1], 0x28
	s_bfe_u32 s2, ttmp6, 0x4000c
	s_and_b32 s12, ttmp6, 15
	s_add_co_i32 s2, s2, 1
	s_getreg_b32 s3, hwreg(HW_REG_IB_STS2, 6, 4)
	s_mul_i32 s2, ttmp9, s2
	v_lshlrev_b32_e32 v2, 3, v0
	s_add_co_i32 s12, s12, s2
	s_cmp_eq_u32 s3, 0
	s_mov_b32 s19, 0
	s_cselect_b32 s14, ttmp9, s12
	s_load_b64 s[12:13], s[0:1], 0x0
	s_ashr_i32 s15, s14, 31
	s_delay_alu instid0(SALU_CYCLE_1)
	s_lshl_b64 s[16:17], s[14:15], 3
	s_wait_kmcnt 0x0
	s_add_nc_u64 s[8:9], s[8:9], s[16:17]
	s_load_b64 s[8:9], s[8:9], 0x0
	v_cmp_gt_i32_e64 s2, s12, v0
	s_and_saveexec_b32 s18, s2
	s_cbranch_execz .LBB10_3
; %bb.1:
	s_clause 0x1
	s_load_b128 s[20:23], s[0:1], 0x8
	s_load_b32 s24, s[0:1], 0x18
	s_sub_co_i32 s25, 1, s12
	v_dual_mov_b32 v4, v0 :: v_dual_lshlrev_b32 v3, 3, v0
	s_wait_kmcnt 0x0
	s_add_nc_u64 s[16:17], s[20:21], s[16:17]
	s_lshl_b64 s[20:21], s[22:23], 3
	s_load_b64 s[16:17], s[16:17], 0x0
	s_mul_i32 s22, s24, s25
	s_cmp_lt_i32 s24, 1
	s_cselect_b32 s22, s22, 0
	s_delay_alu instid0(SALU_CYCLE_1)
	v_mad_u32 v1, v0, s24, s22
	s_wait_kmcnt 0x0
	s_add_nc_u64 s[16:17], s[16:17], s[20:21]
	s_lshl_b32 s20, s24, 6
.LBB10_2:                               ; =>This Inner Loop Header: Depth=1
	flat_load_b64 v[6:7], v1, s[16:17] scale_offset
	s_wait_xcnt 0x0
	v_dual_add_nc_u32 v4, 64, v4 :: v_dual_add_nc_u32 v1, s20, v1
	s_delay_alu instid0(VALU_DEP_1)
	v_cmp_le_i32_e32 vcc_lo, s12, v4
	s_or_b32 s19, vcc_lo, s19
	s_wait_loadcnt_dscnt 0x0
	ds_store_b64 v3, v[6:7]
	v_add_nc_u32_e32 v3, 0x200, v3
	s_and_not1_b32 exec_lo, exec_lo, s19
	s_cbranch_execnz .LBB10_2
.LBB10_3:
	s_or_b32 exec_lo, exec_lo, s18
	s_bfe_u32 s16, ttmp6, 0x40010
	s_bfe_u32 s17, ttmp6, 0x40004
	s_add_co_i32 s16, s16, 1
	s_wait_dscnt 0x0
	s_mul_i32 s16, ttmp7, s16
	s_barrier_signal -1
	s_add_co_i32 s17, s17, s16
	s_cmp_eq_u32 s3, 0
	s_barrier_wait -1
	s_cselect_b32 s3, ttmp7, s17
	s_delay_alu instid0(SALU_CYCLE_1)
	s_cmp_ge_i32 s3, s13
	s_cbranch_scc1 .LBB10_23
; %bb.4:
	s_load_b32 s16, s[0:1], 0x48
	s_wait_xcnt 0x0
	s_mul_u64 s[0:1], s[6:7], s[14:15]
	v_mov_b32_e32 v3, 0
	s_lshl_b64 s[6:7], s[0:1], 3
	s_cmp_gt_i32 s12, 1
	v_dual_lshrrev_b32 v1, 2, v0 :: v_dual_bitop2_b32 v6, 31, v0 bitop3:0x40
	s_cselect_b32 s14, -1, 0
	s_lshl_b64 s[0:1], s[10:11], 3
	v_mbcnt_lo_u32_b32 v14, -1, 0
	s_wait_kmcnt 0x0
	s_add_nc_u64 s[8:9], s[8:9], s[0:1]
	v_cmp_eq_u32_e64 s0, 0, v0
	v_add_nc_u64_e32 v[4:5], s[8:9], v[2:3]
	v_cmp_eq_u32_e64 s1, 0, v6
	v_lshl_or_b32 v15, v14, 2, 64
	s_add_nc_u64 s[4:5], s[4:5], s[6:7]
	s_mul_i32 s6, s3, s16
	s_lshl_b32 s8, s16, 6
	s_branch .LBB10_6
.LBB10_5:                               ;   in Loop: Header=BB10_6 Depth=1
	s_or_b32 exec_lo, exec_lo, s7
	s_add_co_i32 s3, s3, 64
	s_add_co_i32 s6, s6, s8
	s_cmp_ge_i32 s3, s13
	s_cbranch_scc1 .LBB10_23
.LBB10_6:                               ; =>This Loop Header: Depth=1
                                        ;     Child Loop BB10_8 Depth 2
                                        ;     Child Loop BB10_22 Depth 2
	s_ashr_i32 s7, s6, 31
	v_mov_b64_e32 v[8:9], 0
	v_lshl_add_u64 v[6:7], s[6:7], 3, v[4:5]
	s_and_saveexec_b32 s7, s2
	s_cbranch_execz .LBB10_10
; %bb.7:                                ;   in Loop: Header=BB10_6 Depth=1
	v_mov_b64_e32 v[8:9], 0
	s_delay_alu instid0(VALU_DEP_2)
	v_mov_b64_e32 v[10:11], v[6:7]
	v_dual_mov_b32 v12, v2 :: v_dual_mov_b32 v13, v0
	s_mov_b32 s9, 0
.LBB10_8:                               ;   Parent Loop BB10_6 Depth=1
                                        ; =>  This Inner Loop Header: Depth=2
	flat_load_b64 v[16:17], v[10:11]
	ds_load_b64 v[18:19], v12
	v_add_nc_u32_e32 v13, 64, v13
	s_wait_xcnt 0x0
	v_add_nc_u64_e32 v[10:11], 0x200, v[10:11]
	v_add_nc_u32_e32 v12, 0x200, v12
	s_delay_alu instid0(VALU_DEP_3)
	v_cmp_le_i32_e32 vcc_lo, s12, v13
	s_or_b32 s9, vcc_lo, s9
	s_wait_loadcnt_dscnt 0x0
	v_fmac_f64_e32 v[8:9], v[18:19], v[16:17]
	s_and_not1_b32 exec_lo, exec_lo, s9
	s_cbranch_execnz .LBB10_8
; %bb.9:                                ;   in Loop: Header=BB10_6 Depth=1
	s_or_b32 exec_lo, exec_lo, s9
.LBB10_10:                              ;   in Loop: Header=BB10_6 Depth=1
	s_delay_alu instid0(SALU_CYCLE_1) | instskip(NEXT) | instid1(SALU_CYCLE_1)
	s_or_b32 exec_lo, exec_lo, s7
	s_and_b32 vcc_lo, exec_lo, s14
	s_cbranch_vccz .LBB10_17
; %bb.11:                               ;   in Loop: Header=BB10_6 Depth=1
	v_cmp_ne_u32_e32 vcc_lo, 31, v14
	v_add_co_ci_u32_e64 v10, null, 0, v14, vcc_lo
	v_cmp_gt_u32_e32 vcc_lo, 30, v14
	s_delay_alu instid0(VALU_DEP_2)
	v_lshlrev_b32_e32 v11, 2, v10
	v_cndmask_b32_e64 v12, 0, 2, vcc_lo
	v_cmp_gt_u32_e32 vcc_lo, 28, v14
	ds_bpermute_b32 v10, v11, v8
	ds_bpermute_b32 v11, v11, v9
	v_add_lshl_u32 v13, v12, v14, 2
	s_wait_dscnt 0x0
	v_add_f64_e32 v[10:11], v[8:9], v[10:11]
	ds_bpermute_b32 v12, v13, v10
	ds_bpermute_b32 v13, v13, v11
	s_wait_dscnt 0x0
	v_add_f64_e32 v[10:11], v[10:11], v[12:13]
	v_cndmask_b32_e64 v12, 0, 4, vcc_lo
	v_cmp_gt_u32_e32 vcc_lo, 24, v14
	s_delay_alu instid0(VALU_DEP_2)
	v_add_lshl_u32 v13, v12, v14, 2
	ds_bpermute_b32 v12, v13, v10
	ds_bpermute_b32 v13, v13, v11
	s_wait_dscnt 0x0
	v_add_f64_e32 v[10:11], v[10:11], v[12:13]
	v_cndmask_b32_e64 v12, 0, 8, vcc_lo
	s_delay_alu instid0(VALU_DEP_1)
	v_add_lshl_u32 v13, v12, v14, 2
	ds_bpermute_b32 v12, v13, v10
	ds_bpermute_b32 v13, v13, v11
	s_wait_dscnt 0x0
	v_add_f64_e32 v[10:11], v[10:11], v[12:13]
	ds_bpermute_b32 v12, v15, v10
	ds_bpermute_b32 v13, v15, v11
	s_wait_dscnt 0x0
	v_add_f64_e32 v[12:13], v[10:11], v[12:13]
	s_and_saveexec_b32 s7, s1
; %bb.12:                               ;   in Loop: Header=BB10_6 Depth=1
	ds_store_b64 v1, v[12:13] offset:16384
; %bb.13:                               ;   in Loop: Header=BB10_6 Depth=1
	s_or_b32 exec_lo, exec_lo, s7
	s_mov_b32 s9, 0
	s_mov_b32 s7, 0
	s_wait_dscnt 0x0
	s_barrier_signal -1
	s_barrier_wait -1
                                        ; implicit-def: $vgpr10_vgpr11
	s_and_saveexec_b32 s10, s0
	s_delay_alu instid0(SALU_CYCLE_1)
	s_xor_b32 s10, exec_lo, s10
	s_cbranch_execz .LBB10_15
; %bb.14:                               ;   in Loop: Header=BB10_6 Depth=1
	ds_load_b64 v[10:11], v3 offset:16392
	s_mov_b32 s7, exec_lo
	s_wait_dscnt 0x0
	v_add_f64_e32 v[10:11], v[12:13], v[10:11]
.LBB10_15:                              ;   in Loop: Header=BB10_6 Depth=1
	s_or_b32 exec_lo, exec_lo, s10
	s_delay_alu instid0(SALU_CYCLE_1)
	s_and_b32 vcc_lo, exec_lo, s9
	s_cbranch_vccnz .LBB10_18
.LBB10_16:                              ;   in Loop: Header=BB10_6 Depth=1
	s_delay_alu instid0(VALU_DEP_1)
	v_mov_b64_e32 v[8:9], v[10:11]
	s_and_saveexec_b32 s9, s7
	s_cbranch_execnz .LBB10_19
	s_branch .LBB10_20
.LBB10_17:                              ;   in Loop: Header=BB10_6 Depth=1
	s_mov_b32 s7, 0
                                        ; implicit-def: $vgpr10_vgpr11
	s_cbranch_execz .LBB10_16
.LBB10_18:                              ;   in Loop: Header=BB10_6 Depth=1
	s_and_not1_b32 s7, s7, exec_lo
	s_and_b32 s9, s0, exec_lo
	s_delay_alu instid0(SALU_CYCLE_1) | instskip(NEXT) | instid1(SALU_CYCLE_1)
	s_or_b32 s7, s7, s9
	s_and_saveexec_b32 s9, s7
.LBB10_19:                              ;   in Loop: Header=BB10_6 Depth=1
	ds_store_b64 v3, v[8:9] offset:16384
.LBB10_20:                              ;   in Loop: Header=BB10_6 Depth=1
	s_or_b32 exec_lo, exec_lo, s9
	s_wait_dscnt 0x0
	s_barrier_signal -1
	s_barrier_wait -1
	s_and_saveexec_b32 s7, s2
	s_cbranch_execz .LBB10_5
; %bb.21:                               ;   in Loop: Header=BB10_6 Depth=1
	global_load_b64 v[8:9], v3, s[4:5]
	ds_load_b64 v[10:11], v3 offset:16384
	s_mov_b32 s9, 0
	s_wait_loadcnt_dscnt 0x0
	v_dual_mul_f64 v[8:9], v[10:11], -v[8:9] :: v_dual_mov_b32 v11, v0
	v_mov_b32_e32 v10, v2
.LBB10_22:                              ;   Parent Loop BB10_6 Depth=1
                                        ; =>  This Inner Loop Header: Depth=2
	flat_load_b64 v[12:13], v[6:7]
	ds_load_b64 v[16:17], v10
	v_add_nc_u32_e32 v11, 64, v11
	v_add_nc_u32_e32 v10, 0x200, v10
	s_delay_alu instid0(VALU_DEP_2)
	v_cmp_le_i32_e32 vcc_lo, s12, v11
	s_or_b32 s9, vcc_lo, s9
	s_wait_loadcnt_dscnt 0x0
	v_fmac_f64_e32 v[12:13], v[8:9], v[16:17]
	flat_store_b64 v[6:7], v[12:13]
	s_wait_xcnt 0x0
	v_add_nc_u64_e32 v[6:7], 0x200, v[6:7]
	s_and_not1_b32 exec_lo, exec_lo, s9
	s_cbranch_execnz .LBB10_22
	s_branch .LBB10_5
.LBB10_23:
	s_endpgm
	.section	.rodata,"a",@progbits
	.p2align	6, 0x0
	.amdhsa_kernel _ZN9rocsolver6v33100L22larf_left_kernel_smallILi64EdiPKPdEEvT1_S5_T2_lS5_lPKT0_lS6_lS5_l
		.amdhsa_group_segment_fixed_size 16896
		.amdhsa_private_segment_fixed_size 0
		.amdhsa_kernarg_size 88
		.amdhsa_user_sgpr_count 2
		.amdhsa_user_sgpr_dispatch_ptr 0
		.amdhsa_user_sgpr_queue_ptr 0
		.amdhsa_user_sgpr_kernarg_segment_ptr 1
		.amdhsa_user_sgpr_dispatch_id 0
		.amdhsa_user_sgpr_kernarg_preload_length 0
		.amdhsa_user_sgpr_kernarg_preload_offset 0
		.amdhsa_user_sgpr_private_segment_size 0
		.amdhsa_wavefront_size32 1
		.amdhsa_uses_dynamic_stack 0
		.amdhsa_enable_private_segment 0
		.amdhsa_system_sgpr_workgroup_id_x 1
		.amdhsa_system_sgpr_workgroup_id_y 1
		.amdhsa_system_sgpr_workgroup_id_z 0
		.amdhsa_system_sgpr_workgroup_info 0
		.amdhsa_system_vgpr_workitem_id 0
		.amdhsa_next_free_vgpr 113
		.amdhsa_next_free_sgpr 26
		.amdhsa_named_barrier_count 0
		.amdhsa_reserve_vcc 1
		.amdhsa_float_round_mode_32 0
		.amdhsa_float_round_mode_16_64 0
		.amdhsa_float_denorm_mode_32 3
		.amdhsa_float_denorm_mode_16_64 3
		.amdhsa_fp16_overflow 0
		.amdhsa_memory_ordered 1
		.amdhsa_forward_progress 1
		.amdhsa_inst_pref_size 9
		.amdhsa_round_robin_scheduling 0
		.amdhsa_exception_fp_ieee_invalid_op 0
		.amdhsa_exception_fp_denorm_src 0
		.amdhsa_exception_fp_ieee_div_zero 0
		.amdhsa_exception_fp_ieee_overflow 0
		.amdhsa_exception_fp_ieee_underflow 0
		.amdhsa_exception_fp_ieee_inexact 0
		.amdhsa_exception_int_div_zero 0
	.end_amdhsa_kernel
	.section	.text._ZN9rocsolver6v33100L22larf_left_kernel_smallILi64EdiPKPdEEvT1_S5_T2_lS5_lPKT0_lS6_lS5_l,"axG",@progbits,_ZN9rocsolver6v33100L22larf_left_kernel_smallILi64EdiPKPdEEvT1_S5_T2_lS5_lPKT0_lS6_lS5_l,comdat
.Lfunc_end10:
	.size	_ZN9rocsolver6v33100L22larf_left_kernel_smallILi64EdiPKPdEEvT1_S5_T2_lS5_lPKT0_lS6_lS5_l, .Lfunc_end10-_ZN9rocsolver6v33100L22larf_left_kernel_smallILi64EdiPKPdEEvT1_S5_T2_lS5_lPKT0_lS6_lS5_l
                                        ; -- End function
	.set _ZN9rocsolver6v33100L22larf_left_kernel_smallILi64EdiPKPdEEvT1_S5_T2_lS5_lPKT0_lS6_lS5_l.num_vgpr, 20
	.set _ZN9rocsolver6v33100L22larf_left_kernel_smallILi64EdiPKPdEEvT1_S5_T2_lS5_lPKT0_lS6_lS5_l.num_agpr, 0
	.set _ZN9rocsolver6v33100L22larf_left_kernel_smallILi64EdiPKPdEEvT1_S5_T2_lS5_lPKT0_lS6_lS5_l.numbered_sgpr, 26
	.set _ZN9rocsolver6v33100L22larf_left_kernel_smallILi64EdiPKPdEEvT1_S5_T2_lS5_lPKT0_lS6_lS5_l.num_named_barrier, 0
	.set _ZN9rocsolver6v33100L22larf_left_kernel_smallILi64EdiPKPdEEvT1_S5_T2_lS5_lPKT0_lS6_lS5_l.private_seg_size, 0
	.set _ZN9rocsolver6v33100L22larf_left_kernel_smallILi64EdiPKPdEEvT1_S5_T2_lS5_lPKT0_lS6_lS5_l.uses_vcc, 1
	.set _ZN9rocsolver6v33100L22larf_left_kernel_smallILi64EdiPKPdEEvT1_S5_T2_lS5_lPKT0_lS6_lS5_l.uses_flat_scratch, 0
	.set _ZN9rocsolver6v33100L22larf_left_kernel_smallILi64EdiPKPdEEvT1_S5_T2_lS5_lPKT0_lS6_lS5_l.has_dyn_sized_stack, 0
	.set _ZN9rocsolver6v33100L22larf_left_kernel_smallILi64EdiPKPdEEvT1_S5_T2_lS5_lPKT0_lS6_lS5_l.has_recursion, 0
	.set _ZN9rocsolver6v33100L22larf_left_kernel_smallILi64EdiPKPdEEvT1_S5_T2_lS5_lPKT0_lS6_lS5_l.has_indirect_call, 0
	.section	.AMDGPU.csdata,"",@progbits
; Kernel info:
; codeLenInByte = 1104
; TotalNumSgprs: 28
; NumVgprs: 20
; ScratchSize: 0
; MemoryBound: 0
; FloatMode: 240
; IeeeMode: 1
; LDSByteSize: 16896 bytes/workgroup (compile time only)
; SGPRBlocks: 0
; VGPRBlocks: 7
; NumSGPRsForWavesPerEU: 28
; NumVGPRsForWavesPerEU: 113
; NamedBarCnt: 0
; Occupancy: 8
; WaveLimiterHint : 1
; COMPUTE_PGM_RSRC2:SCRATCH_EN: 0
; COMPUTE_PGM_RSRC2:USER_SGPR: 2
; COMPUTE_PGM_RSRC2:TRAP_HANDLER: 0
; COMPUTE_PGM_RSRC2:TGID_X_EN: 1
; COMPUTE_PGM_RSRC2:TGID_Y_EN: 1
; COMPUTE_PGM_RSRC2:TGID_Z_EN: 0
; COMPUTE_PGM_RSRC2:TIDIG_COMP_CNT: 0
	.section	.text._ZN9rocsolver6v33100L22larf_left_kernel_smallILi128EdiPKPdEEvT1_S5_T2_lS5_lPKT0_lS6_lS5_l,"axG",@progbits,_ZN9rocsolver6v33100L22larf_left_kernel_smallILi128EdiPKPdEEvT1_S5_T2_lS5_lPKT0_lS6_lS5_l,comdat
	.globl	_ZN9rocsolver6v33100L22larf_left_kernel_smallILi128EdiPKPdEEvT1_S5_T2_lS5_lPKT0_lS6_lS5_l ; -- Begin function _ZN9rocsolver6v33100L22larf_left_kernel_smallILi128EdiPKPdEEvT1_S5_T2_lS5_lPKT0_lS6_lS5_l
	.p2align	8
	.type	_ZN9rocsolver6v33100L22larf_left_kernel_smallILi128EdiPKPdEEvT1_S5_T2_lS5_lPKT0_lS6_lS5_l,@function
_ZN9rocsolver6v33100L22larf_left_kernel_smallILi128EdiPKPdEEvT1_S5_T2_lS5_lPKT0_lS6_lS5_l: ; @_ZN9rocsolver6v33100L22larf_left_kernel_smallILi128EdiPKPdEEvT1_S5_T2_lS5_lPKT0_lS6_lS5_l
; %bb.0:
	s_load_b256 s[4:11], s[0:1], 0x28
	s_bfe_u32 s2, ttmp6, 0x4000c
	s_and_b32 s12, ttmp6, 15
	s_add_co_i32 s2, s2, 1
	s_getreg_b32 s3, hwreg(HW_REG_IB_STS2, 6, 4)
	s_mul_i32 s2, ttmp9, s2
	v_lshlrev_b32_e32 v2, 3, v0
	s_add_co_i32 s12, s12, s2
	s_cmp_eq_u32 s3, 0
	s_mov_b32 s19, 0
	s_cselect_b32 s14, ttmp9, s12
	s_load_b64 s[12:13], s[0:1], 0x0
	s_ashr_i32 s15, s14, 31
	s_delay_alu instid0(SALU_CYCLE_1)
	s_lshl_b64 s[16:17], s[14:15], 3
	s_wait_kmcnt 0x0
	s_add_nc_u64 s[8:9], s[8:9], s[16:17]
	s_load_b64 s[8:9], s[8:9], 0x0
	v_cmp_gt_i32_e64 s2, s12, v0
	s_and_saveexec_b32 s18, s2
	s_cbranch_execz .LBB11_3
; %bb.1:
	s_clause 0x1
	s_load_b128 s[20:23], s[0:1], 0x8
	s_load_b32 s24, s[0:1], 0x18
	s_sub_co_i32 s25, 1, s12
	v_dual_mov_b32 v4, v0 :: v_dual_lshlrev_b32 v3, 3, v0
	s_wait_kmcnt 0x0
	s_add_nc_u64 s[16:17], s[20:21], s[16:17]
	s_lshl_b64 s[20:21], s[22:23], 3
	s_load_b64 s[16:17], s[16:17], 0x0
	s_mul_i32 s22, s24, s25
	s_cmp_lt_i32 s24, 1
	s_cselect_b32 s22, s22, 0
	s_delay_alu instid0(SALU_CYCLE_1)
	v_mad_u32 v1, v0, s24, s22
	s_wait_kmcnt 0x0
	s_add_nc_u64 s[16:17], s[16:17], s[20:21]
	s_lshl_b32 s20, s24, 7
.LBB11_2:                               ; =>This Inner Loop Header: Depth=1
	flat_load_b64 v[6:7], v1, s[16:17] scale_offset
	v_add_nc_u32_e32 v4, 0x80, v4
	s_wait_xcnt 0x0
	v_add_nc_u32_e32 v1, s20, v1
	s_delay_alu instid0(VALU_DEP_2)
	v_cmp_le_i32_e32 vcc_lo, s12, v4
	s_or_b32 s19, vcc_lo, s19
	s_wait_loadcnt_dscnt 0x0
	ds_store_b64 v3, v[6:7]
	v_add_nc_u32_e32 v3, 0x400, v3
	s_and_not1_b32 exec_lo, exec_lo, s19
	s_cbranch_execnz .LBB11_2
.LBB11_3:
	s_or_b32 exec_lo, exec_lo, s18
	s_bfe_u32 s16, ttmp6, 0x40010
	s_bfe_u32 s17, ttmp6, 0x40004
	s_add_co_i32 s16, s16, 1
	s_wait_dscnt 0x0
	s_mul_i32 s16, ttmp7, s16
	s_barrier_signal -1
	s_add_co_i32 s17, s17, s16
	s_cmp_eq_u32 s3, 0
	s_barrier_wait -1
	s_cselect_b32 s3, ttmp7, s17
	s_delay_alu instid0(SALU_CYCLE_1)
	s_cmp_ge_i32 s3, s13
	s_cbranch_scc1 .LBB11_23
; %bb.4:
	s_load_b32 s16, s[0:1], 0x48
	s_mul_u64 s[6:7], s[6:7], s[14:15]
	v_mov_b32_e32 v3, 0
	s_lshl_b64 s[6:7], s[6:7], 3
	s_cmp_gt_i32 s12, 1
	v_dual_lshrrev_b32 v1, 2, v0 :: v_dual_bitop2_b32 v6, 31, v0 bitop3:0x40
	s_cselect_b32 s14, -1, 0
	s_lshl_b64 s[10:11], s[10:11], 3
	v_mbcnt_lo_u32_b32 v14, -1, 0
	s_wait_kmcnt 0x0
	s_add_nc_u64 s[8:9], s[8:9], s[10:11]
	v_cmp_eq_u32_e64 s0, 0, v0
	v_add_nc_u64_e32 v[4:5], s[8:9], v[2:3]
	v_mov_b32_e32 v15, 0x4008
	v_cmp_eq_u32_e64 s1, 0, v6
	v_lshl_or_b32 v16, v14, 2, 64
	s_add_nc_u64 s[4:5], s[4:5], s[6:7]
	s_mul_i32 s6, s3, s16
	s_lshl_b32 s8, s16, 6
	s_branch .LBB11_6
.LBB11_5:                               ;   in Loop: Header=BB11_6 Depth=1
	s_or_b32 exec_lo, exec_lo, s7
	s_add_co_i32 s3, s3, 64
	s_add_co_i32 s6, s6, s8
	s_cmp_ge_i32 s3, s13
	s_cbranch_scc1 .LBB11_23
.LBB11_6:                               ; =>This Loop Header: Depth=1
                                        ;     Child Loop BB11_8 Depth 2
                                        ;     Child Loop BB11_22 Depth 2
	s_ashr_i32 s7, s6, 31
	v_mov_b64_e32 v[8:9], 0
	v_lshl_add_u64 v[6:7], s[6:7], 3, v[4:5]
	s_and_saveexec_b32 s7, s2
	s_cbranch_execz .LBB11_10
; %bb.7:                                ;   in Loop: Header=BB11_6 Depth=1
	v_mov_b64_e32 v[8:9], 0
	s_delay_alu instid0(VALU_DEP_2)
	v_mov_b64_e32 v[10:11], v[6:7]
	v_dual_mov_b32 v12, v2 :: v_dual_mov_b32 v13, v0
	s_mov_b32 s9, 0
.LBB11_8:                               ;   Parent Loop BB11_6 Depth=1
                                        ; =>  This Inner Loop Header: Depth=2
	flat_load_b64 v[18:19], v[10:11]
	ds_load_b64 v[20:21], v12
	v_add_nc_u32_e32 v13, 0x80, v13
	s_wait_xcnt 0x0
	v_add_nc_u64_e32 v[10:11], 0x400, v[10:11]
	v_add_nc_u32_e32 v12, 0x400, v12
	s_delay_alu instid0(VALU_DEP_3)
	v_cmp_le_i32_e32 vcc_lo, s12, v13
	s_or_b32 s9, vcc_lo, s9
	s_wait_loadcnt_dscnt 0x0
	v_fmac_f64_e32 v[8:9], v[20:21], v[18:19]
	s_and_not1_b32 exec_lo, exec_lo, s9
	s_cbranch_execnz .LBB11_8
; %bb.9:                                ;   in Loop: Header=BB11_6 Depth=1
	s_or_b32 exec_lo, exec_lo, s9
.LBB11_10:                              ;   in Loop: Header=BB11_6 Depth=1
	s_delay_alu instid0(SALU_CYCLE_1) | instskip(NEXT) | instid1(SALU_CYCLE_1)
	s_or_b32 exec_lo, exec_lo, s7
	s_and_b32 vcc_lo, exec_lo, s14
	s_cbranch_vccz .LBB11_17
; %bb.11:                               ;   in Loop: Header=BB11_6 Depth=1
	v_cmp_ne_u32_e32 vcc_lo, 31, v14
	v_add_co_ci_u32_e64 v10, null, 0, v14, vcc_lo
	v_cmp_gt_u32_e32 vcc_lo, 30, v14
	s_delay_alu instid0(VALU_DEP_2)
	v_lshlrev_b32_e32 v11, 2, v10
	v_cndmask_b32_e64 v12, 0, 2, vcc_lo
	v_cmp_gt_u32_e32 vcc_lo, 28, v14
	ds_bpermute_b32 v10, v11, v8
	ds_bpermute_b32 v11, v11, v9
	v_add_lshl_u32 v13, v12, v14, 2
	s_wait_dscnt 0x0
	v_add_f64_e32 v[10:11], v[8:9], v[10:11]
	ds_bpermute_b32 v12, v13, v10
	ds_bpermute_b32 v13, v13, v11
	s_wait_dscnt 0x0
	v_add_f64_e32 v[10:11], v[10:11], v[12:13]
	v_cndmask_b32_e64 v12, 0, 4, vcc_lo
	v_cmp_gt_u32_e32 vcc_lo, 24, v14
	s_delay_alu instid0(VALU_DEP_2)
	v_add_lshl_u32 v13, v12, v14, 2
	ds_bpermute_b32 v12, v13, v10
	ds_bpermute_b32 v13, v13, v11
	s_wait_dscnt 0x0
	v_add_f64_e32 v[10:11], v[10:11], v[12:13]
	v_cndmask_b32_e64 v12, 0, 8, vcc_lo
	s_delay_alu instid0(VALU_DEP_1)
	v_add_lshl_u32 v13, v12, v14, 2
	ds_bpermute_b32 v12, v13, v10
	ds_bpermute_b32 v13, v13, v11
	s_wait_dscnt 0x0
	v_add_f64_e32 v[10:11], v[10:11], v[12:13]
	ds_bpermute_b32 v12, v16, v10
	ds_bpermute_b32 v13, v16, v11
	s_wait_dscnt 0x0
	v_add_f64_e32 v[10:11], v[10:11], v[12:13]
	s_and_saveexec_b32 s7, s1
; %bb.12:                               ;   in Loop: Header=BB11_6 Depth=1
	ds_store_b64 v1, v[10:11] offset:16384
; %bb.13:                               ;   in Loop: Header=BB11_6 Depth=1
	s_or_b32 exec_lo, exec_lo, s7
	s_mov_b32 s9, 0
	s_mov_b32 s7, 0
	s_wait_dscnt 0x0
	s_barrier_signal -1
	s_barrier_wait -1
                                        ; implicit-def: $vgpr12_vgpr13
	s_and_saveexec_b32 s10, s0
	s_delay_alu instid0(SALU_CYCLE_1)
	s_xor_b32 s10, exec_lo, s10
	s_cbranch_execz .LBB11_15
; %bb.14:                               ;   in Loop: Header=BB11_6 Depth=1
	ds_load_2addr_b64 v[18:21], v15 offset1:1
	ds_load_b64 v[12:13], v3 offset:16408
	s_mov_b32 s7, exec_lo
	s_wait_dscnt 0x1
	v_add_f64_e32 v[10:11], v[10:11], v[18:19]
	s_delay_alu instid0(VALU_DEP_1) | instskip(SKIP_1) | instid1(VALU_DEP_1)
	v_add_f64_e32 v[10:11], v[10:11], v[20:21]
	s_wait_dscnt 0x0
	v_add_f64_e32 v[12:13], v[10:11], v[12:13]
.LBB11_15:                              ;   in Loop: Header=BB11_6 Depth=1
	s_or_b32 exec_lo, exec_lo, s10
	s_delay_alu instid0(SALU_CYCLE_1)
	s_and_b32 vcc_lo, exec_lo, s9
	s_cbranch_vccnz .LBB11_18
.LBB11_16:                              ;   in Loop: Header=BB11_6 Depth=1
	s_delay_alu instid0(VALU_DEP_1)
	v_mov_b64_e32 v[8:9], v[12:13]
	s_and_saveexec_b32 s9, s7
	s_cbranch_execnz .LBB11_19
	s_branch .LBB11_20
.LBB11_17:                              ;   in Loop: Header=BB11_6 Depth=1
	s_mov_b32 s7, 0
                                        ; implicit-def: $vgpr12_vgpr13
	s_cbranch_execz .LBB11_16
.LBB11_18:                              ;   in Loop: Header=BB11_6 Depth=1
	s_and_not1_b32 s7, s7, exec_lo
	s_and_b32 s9, s0, exec_lo
	s_delay_alu instid0(SALU_CYCLE_1) | instskip(NEXT) | instid1(SALU_CYCLE_1)
	s_or_b32 s7, s7, s9
	s_and_saveexec_b32 s9, s7
.LBB11_19:                              ;   in Loop: Header=BB11_6 Depth=1
	ds_store_b64 v3, v[8:9] offset:16384
.LBB11_20:                              ;   in Loop: Header=BB11_6 Depth=1
	s_or_b32 exec_lo, exec_lo, s9
	s_wait_dscnt 0x0
	s_barrier_signal -1
	s_barrier_wait -1
	s_and_saveexec_b32 s7, s2
	s_cbranch_execz .LBB11_5
; %bb.21:                               ;   in Loop: Header=BB11_6 Depth=1
	global_load_b64 v[8:9], v3, s[4:5]
	ds_load_b64 v[10:11], v3 offset:16384
	s_mov_b32 s9, 0
	s_wait_loadcnt_dscnt 0x0
	v_dual_mul_f64 v[8:9], v[10:11], -v[8:9] :: v_dual_mov_b32 v11, v0
	v_mov_b32_e32 v10, v2
.LBB11_22:                              ;   Parent Loop BB11_6 Depth=1
                                        ; =>  This Inner Loop Header: Depth=2
	flat_load_b64 v[12:13], v[6:7]
	ds_load_b64 v[18:19], v10
	v_add_nc_u32_e32 v11, 0x80, v11
	v_add_nc_u32_e32 v10, 0x400, v10
	s_delay_alu instid0(VALU_DEP_2)
	v_cmp_le_i32_e32 vcc_lo, s12, v11
	s_or_b32 s9, vcc_lo, s9
	s_wait_loadcnt_dscnt 0x0
	v_fmac_f64_e32 v[12:13], v[8:9], v[18:19]
	flat_store_b64 v[6:7], v[12:13]
	s_wait_xcnt 0x0
	v_add_nc_u64_e32 v[6:7], 0x400, v[6:7]
	s_and_not1_b32 exec_lo, exec_lo, s9
	s_cbranch_execnz .LBB11_22
	s_branch .LBB11_5
.LBB11_23:
	s_endpgm
	.section	.rodata,"a",@progbits
	.p2align	6, 0x0
	.amdhsa_kernel _ZN9rocsolver6v33100L22larf_left_kernel_smallILi128EdiPKPdEEvT1_S5_T2_lS5_lPKT0_lS6_lS5_l
		.amdhsa_group_segment_fixed_size 17408
		.amdhsa_private_segment_fixed_size 0
		.amdhsa_kernarg_size 88
		.amdhsa_user_sgpr_count 2
		.amdhsa_user_sgpr_dispatch_ptr 0
		.amdhsa_user_sgpr_queue_ptr 0
		.amdhsa_user_sgpr_kernarg_segment_ptr 1
		.amdhsa_user_sgpr_dispatch_id 0
		.amdhsa_user_sgpr_kernarg_preload_length 0
		.amdhsa_user_sgpr_kernarg_preload_offset 0
		.amdhsa_user_sgpr_private_segment_size 0
		.amdhsa_wavefront_size32 1
		.amdhsa_uses_dynamic_stack 0
		.amdhsa_enable_private_segment 0
		.amdhsa_system_sgpr_workgroup_id_x 1
		.amdhsa_system_sgpr_workgroup_id_y 1
		.amdhsa_system_sgpr_workgroup_id_z 0
		.amdhsa_system_sgpr_workgroup_info 0
		.amdhsa_system_vgpr_workitem_id 0
		.amdhsa_next_free_vgpr 22
		.amdhsa_next_free_sgpr 26
		.amdhsa_named_barrier_count 0
		.amdhsa_reserve_vcc 1
		.amdhsa_float_round_mode_32 0
		.amdhsa_float_round_mode_16_64 0
		.amdhsa_float_denorm_mode_32 3
		.amdhsa_float_denorm_mode_16_64 3
		.amdhsa_fp16_overflow 0
		.amdhsa_memory_ordered 1
		.amdhsa_forward_progress 1
		.amdhsa_inst_pref_size 9
		.amdhsa_round_robin_scheduling 0
		.amdhsa_exception_fp_ieee_invalid_op 0
		.amdhsa_exception_fp_denorm_src 0
		.amdhsa_exception_fp_ieee_div_zero 0
		.amdhsa_exception_fp_ieee_overflow 0
		.amdhsa_exception_fp_ieee_underflow 0
		.amdhsa_exception_fp_ieee_inexact 0
		.amdhsa_exception_int_div_zero 0
	.end_amdhsa_kernel
	.section	.text._ZN9rocsolver6v33100L22larf_left_kernel_smallILi128EdiPKPdEEvT1_S5_T2_lS5_lPKT0_lS6_lS5_l,"axG",@progbits,_ZN9rocsolver6v33100L22larf_left_kernel_smallILi128EdiPKPdEEvT1_S5_T2_lS5_lPKT0_lS6_lS5_l,comdat
.Lfunc_end11:
	.size	_ZN9rocsolver6v33100L22larf_left_kernel_smallILi128EdiPKPdEEvT1_S5_T2_lS5_lPKT0_lS6_lS5_l, .Lfunc_end11-_ZN9rocsolver6v33100L22larf_left_kernel_smallILi128EdiPKPdEEvT1_S5_T2_lS5_lPKT0_lS6_lS5_l
                                        ; -- End function
	.set _ZN9rocsolver6v33100L22larf_left_kernel_smallILi128EdiPKPdEEvT1_S5_T2_lS5_lPKT0_lS6_lS5_l.num_vgpr, 22
	.set _ZN9rocsolver6v33100L22larf_left_kernel_smallILi128EdiPKPdEEvT1_S5_T2_lS5_lPKT0_lS6_lS5_l.num_agpr, 0
	.set _ZN9rocsolver6v33100L22larf_left_kernel_smallILi128EdiPKPdEEvT1_S5_T2_lS5_lPKT0_lS6_lS5_l.numbered_sgpr, 26
	.set _ZN9rocsolver6v33100L22larf_left_kernel_smallILi128EdiPKPdEEvT1_S5_T2_lS5_lPKT0_lS6_lS5_l.num_named_barrier, 0
	.set _ZN9rocsolver6v33100L22larf_left_kernel_smallILi128EdiPKPdEEvT1_S5_T2_lS5_lPKT0_lS6_lS5_l.private_seg_size, 0
	.set _ZN9rocsolver6v33100L22larf_left_kernel_smallILi128EdiPKPdEEvT1_S5_T2_lS5_lPKT0_lS6_lS5_l.uses_vcc, 1
	.set _ZN9rocsolver6v33100L22larf_left_kernel_smallILi128EdiPKPdEEvT1_S5_T2_lS5_lPKT0_lS6_lS5_l.uses_flat_scratch, 0
	.set _ZN9rocsolver6v33100L22larf_left_kernel_smallILi128EdiPKPdEEvT1_S5_T2_lS5_lPKT0_lS6_lS5_l.has_dyn_sized_stack, 0
	.set _ZN9rocsolver6v33100L22larf_left_kernel_smallILi128EdiPKPdEEvT1_S5_T2_lS5_lPKT0_lS6_lS5_l.has_recursion, 0
	.set _ZN9rocsolver6v33100L22larf_left_kernel_smallILi128EdiPKPdEEvT1_S5_T2_lS5_lPKT0_lS6_lS5_l.has_indirect_call, 0
	.section	.AMDGPU.csdata,"",@progbits
; Kernel info:
; codeLenInByte = 1140
; TotalNumSgprs: 28
; NumVgprs: 22
; ScratchSize: 0
; MemoryBound: 0
; FloatMode: 240
; IeeeMode: 1
; LDSByteSize: 17408 bytes/workgroup (compile time only)
; SGPRBlocks: 0
; VGPRBlocks: 1
; NumSGPRsForWavesPerEU: 28
; NumVGPRsForWavesPerEU: 22
; NamedBarCnt: 0
; Occupancy: 16
; WaveLimiterHint : 1
; COMPUTE_PGM_RSRC2:SCRATCH_EN: 0
; COMPUTE_PGM_RSRC2:USER_SGPR: 2
; COMPUTE_PGM_RSRC2:TRAP_HANDLER: 0
; COMPUTE_PGM_RSRC2:TGID_X_EN: 1
; COMPUTE_PGM_RSRC2:TGID_Y_EN: 1
; COMPUTE_PGM_RSRC2:TGID_Z_EN: 0
; COMPUTE_PGM_RSRC2:TIDIG_COMP_CNT: 0
	.section	.text._ZN9rocsolver6v33100L22larf_left_kernel_smallILi256EdiPKPdEEvT1_S5_T2_lS5_lPKT0_lS6_lS5_l,"axG",@progbits,_ZN9rocsolver6v33100L22larf_left_kernel_smallILi256EdiPKPdEEvT1_S5_T2_lS5_lPKT0_lS6_lS5_l,comdat
	.globl	_ZN9rocsolver6v33100L22larf_left_kernel_smallILi256EdiPKPdEEvT1_S5_T2_lS5_lPKT0_lS6_lS5_l ; -- Begin function _ZN9rocsolver6v33100L22larf_left_kernel_smallILi256EdiPKPdEEvT1_S5_T2_lS5_lPKT0_lS6_lS5_l
	.p2align	8
	.type	_ZN9rocsolver6v33100L22larf_left_kernel_smallILi256EdiPKPdEEvT1_S5_T2_lS5_lPKT0_lS6_lS5_l,@function
_ZN9rocsolver6v33100L22larf_left_kernel_smallILi256EdiPKPdEEvT1_S5_T2_lS5_lPKT0_lS6_lS5_l: ; @_ZN9rocsolver6v33100L22larf_left_kernel_smallILi256EdiPKPdEEvT1_S5_T2_lS5_lPKT0_lS6_lS5_l
; %bb.0:
	s_load_b256 s[4:11], s[0:1], 0x28
	s_bfe_u32 s2, ttmp6, 0x4000c
	s_and_b32 s12, ttmp6, 15
	s_add_co_i32 s2, s2, 1
	s_getreg_b32 s3, hwreg(HW_REG_IB_STS2, 6, 4)
	s_mul_i32 s2, ttmp9, s2
	v_lshlrev_b32_e32 v2, 3, v0
	s_add_co_i32 s12, s12, s2
	s_cmp_eq_u32 s3, 0
	s_mov_b32 s19, 0
	s_cselect_b32 s14, ttmp9, s12
	s_load_b64 s[12:13], s[0:1], 0x0
	s_ashr_i32 s15, s14, 31
	s_delay_alu instid0(SALU_CYCLE_1)
	s_lshl_b64 s[16:17], s[14:15], 3
	s_wait_kmcnt 0x0
	s_add_nc_u64 s[8:9], s[8:9], s[16:17]
	s_load_b64 s[8:9], s[8:9], 0x0
	v_cmp_gt_i32_e64 s2, s12, v0
	s_and_saveexec_b32 s18, s2
	s_cbranch_execz .LBB12_3
; %bb.1:
	s_clause 0x1
	s_load_b128 s[20:23], s[0:1], 0x8
	s_load_b32 s24, s[0:1], 0x18
	s_sub_co_i32 s25, 1, s12
	v_dual_mov_b32 v4, v0 :: v_dual_lshlrev_b32 v3, 3, v0
	s_wait_kmcnt 0x0
	s_add_nc_u64 s[16:17], s[20:21], s[16:17]
	s_lshl_b64 s[20:21], s[22:23], 3
	s_load_b64 s[16:17], s[16:17], 0x0
	s_mul_i32 s22, s24, s25
	s_cmp_lt_i32 s24, 1
	s_cselect_b32 s22, s22, 0
	s_delay_alu instid0(SALU_CYCLE_1)
	v_mad_u32 v1, v0, s24, s22
	s_wait_kmcnt 0x0
	s_add_nc_u64 s[16:17], s[16:17], s[20:21]
	s_lshl_b32 s20, s24, 8
.LBB12_2:                               ; =>This Inner Loop Header: Depth=1
	flat_load_b64 v[6:7], v1, s[16:17] scale_offset
	v_add_nc_u32_e32 v4, 0x100, v4
	s_wait_xcnt 0x0
	v_add_nc_u32_e32 v1, s20, v1
	s_delay_alu instid0(VALU_DEP_2)
	v_cmp_le_i32_e32 vcc_lo, s12, v4
	s_or_b32 s19, vcc_lo, s19
	s_wait_loadcnt_dscnt 0x0
	ds_store_b64 v3, v[6:7]
	v_add_nc_u32_e32 v3, 0x800, v3
	s_and_not1_b32 exec_lo, exec_lo, s19
	s_cbranch_execnz .LBB12_2
.LBB12_3:
	s_or_b32 exec_lo, exec_lo, s18
	s_bfe_u32 s16, ttmp6, 0x40010
	s_bfe_u32 s17, ttmp6, 0x40004
	s_add_co_i32 s16, s16, 1
	s_wait_dscnt 0x0
	s_mul_i32 s16, ttmp7, s16
	s_barrier_signal -1
	s_add_co_i32 s17, s17, s16
	s_cmp_eq_u32 s3, 0
	s_barrier_wait -1
	s_cselect_b32 s3, ttmp7, s17
	s_delay_alu instid0(SALU_CYCLE_1)
	s_cmp_ge_i32 s3, s13
	s_cbranch_scc1 .LBB12_23
; %bb.4:
	s_load_b32 s16, s[0:1], 0x48
	s_mul_u64 s[6:7], s[6:7], s[14:15]
	v_dual_mov_b32 v3, 0 :: v_dual_mov_b32 v16, 0x4018
	s_lshl_b64 s[6:7], s[6:7], 3
	s_cmp_gt_i32 s12, 1
	v_dual_lshrrev_b32 v1, 2, v0 :: v_dual_bitop2_b32 v6, 31, v0 bitop3:0x40
	s_cselect_b32 s14, -1, 0
	s_lshl_b64 s[10:11], s[10:11], 3
	v_mbcnt_lo_u32_b32 v14, -1, 0
	s_wait_kmcnt 0x0
	s_add_nc_u64 s[8:9], s[8:9], s[10:11]
	v_cmp_eq_u32_e64 s0, 0, v0
	v_add_nc_u64_e32 v[4:5], s[8:9], v[2:3]
	v_mov_b32_e32 v15, 0x4008
	v_mov_b32_e32 v17, 0x4028
	v_cmp_eq_u32_e64 s1, 0, v6
	v_lshl_or_b32 v18, v14, 2, 64
	s_add_nc_u64 s[4:5], s[4:5], s[6:7]
	s_mul_i32 s6, s3, s16
	s_lshl_b32 s8, s16, 6
	s_branch .LBB12_6
.LBB12_5:                               ;   in Loop: Header=BB12_6 Depth=1
	s_or_b32 exec_lo, exec_lo, s7
	s_add_co_i32 s3, s3, 64
	s_add_co_i32 s6, s6, s8
	s_cmp_ge_i32 s3, s13
	s_cbranch_scc1 .LBB12_23
.LBB12_6:                               ; =>This Loop Header: Depth=1
                                        ;     Child Loop BB12_8 Depth 2
                                        ;     Child Loop BB12_22 Depth 2
	s_ashr_i32 s7, s6, 31
	v_mov_b64_e32 v[8:9], 0
	v_lshl_add_u64 v[6:7], s[6:7], 3, v[4:5]
	s_and_saveexec_b32 s7, s2
	s_cbranch_execz .LBB12_10
; %bb.7:                                ;   in Loop: Header=BB12_6 Depth=1
	v_mov_b64_e32 v[8:9], 0
	s_delay_alu instid0(VALU_DEP_2)
	v_mov_b64_e32 v[10:11], v[6:7]
	v_dual_mov_b32 v12, v2 :: v_dual_mov_b32 v13, v0
	s_mov_b32 s9, 0
.LBB12_8:                               ;   Parent Loop BB12_6 Depth=1
                                        ; =>  This Inner Loop Header: Depth=2
	flat_load_b64 v[20:21], v[10:11]
	ds_load_b64 v[22:23], v12
	v_add_nc_u32_e32 v13, 0x100, v13
	s_wait_xcnt 0x0
	v_add_nc_u64_e32 v[10:11], 0x800, v[10:11]
	v_add_nc_u32_e32 v12, 0x800, v12
	s_delay_alu instid0(VALU_DEP_3)
	v_cmp_le_i32_e32 vcc_lo, s12, v13
	s_or_b32 s9, vcc_lo, s9
	s_wait_loadcnt_dscnt 0x0
	v_fmac_f64_e32 v[8:9], v[22:23], v[20:21]
	s_and_not1_b32 exec_lo, exec_lo, s9
	s_cbranch_execnz .LBB12_8
; %bb.9:                                ;   in Loop: Header=BB12_6 Depth=1
	s_or_b32 exec_lo, exec_lo, s9
.LBB12_10:                              ;   in Loop: Header=BB12_6 Depth=1
	s_delay_alu instid0(SALU_CYCLE_1) | instskip(NEXT) | instid1(SALU_CYCLE_1)
	s_or_b32 exec_lo, exec_lo, s7
	s_and_b32 vcc_lo, exec_lo, s14
	s_cbranch_vccz .LBB12_17
; %bb.11:                               ;   in Loop: Header=BB12_6 Depth=1
	v_cmp_ne_u32_e32 vcc_lo, 31, v14
	v_add_co_ci_u32_e64 v10, null, 0, v14, vcc_lo
	v_cmp_gt_u32_e32 vcc_lo, 30, v14
	s_delay_alu instid0(VALU_DEP_2)
	v_lshlrev_b32_e32 v11, 2, v10
	v_cndmask_b32_e64 v12, 0, 2, vcc_lo
	v_cmp_gt_u32_e32 vcc_lo, 28, v14
	ds_bpermute_b32 v10, v11, v8
	ds_bpermute_b32 v11, v11, v9
	v_add_lshl_u32 v13, v12, v14, 2
	s_wait_dscnt 0x0
	v_add_f64_e32 v[10:11], v[8:9], v[10:11]
	ds_bpermute_b32 v12, v13, v10
	ds_bpermute_b32 v13, v13, v11
	s_wait_dscnt 0x0
	v_add_f64_e32 v[10:11], v[10:11], v[12:13]
	v_cndmask_b32_e64 v12, 0, 4, vcc_lo
	v_cmp_gt_u32_e32 vcc_lo, 24, v14
	s_delay_alu instid0(VALU_DEP_2)
	v_add_lshl_u32 v13, v12, v14, 2
	ds_bpermute_b32 v12, v13, v10
	ds_bpermute_b32 v13, v13, v11
	s_wait_dscnt 0x0
	v_add_f64_e32 v[10:11], v[10:11], v[12:13]
	v_cndmask_b32_e64 v12, 0, 8, vcc_lo
	s_delay_alu instid0(VALU_DEP_1)
	v_add_lshl_u32 v13, v12, v14, 2
	ds_bpermute_b32 v12, v13, v10
	ds_bpermute_b32 v13, v13, v11
	s_wait_dscnt 0x0
	v_add_f64_e32 v[10:11], v[10:11], v[12:13]
	ds_bpermute_b32 v12, v18, v10
	ds_bpermute_b32 v13, v18, v11
	s_wait_dscnt 0x0
	v_add_f64_e32 v[10:11], v[10:11], v[12:13]
	s_and_saveexec_b32 s7, s1
; %bb.12:                               ;   in Loop: Header=BB12_6 Depth=1
	ds_store_b64 v1, v[10:11] offset:16384
; %bb.13:                               ;   in Loop: Header=BB12_6 Depth=1
	s_or_b32 exec_lo, exec_lo, s7
	s_mov_b32 s9, 0
	s_mov_b32 s7, 0
	s_wait_dscnt 0x0
	s_barrier_signal -1
	s_barrier_wait -1
                                        ; implicit-def: $vgpr12_vgpr13
	s_and_saveexec_b32 s10, s0
	s_delay_alu instid0(SALU_CYCLE_1)
	s_xor_b32 s10, exec_lo, s10
	s_cbranch_execz .LBB12_15
; %bb.14:                               ;   in Loop: Header=BB12_6 Depth=1
	ds_load_2addr_b64 v[20:23], v15 offset1:1
	ds_load_2addr_b64 v[24:27], v16 offset1:1
	s_mov_b32 s7, exec_lo
	s_wait_dscnt 0x1
	v_add_f64_e32 v[10:11], v[10:11], v[20:21]
	s_delay_alu instid0(VALU_DEP_1) | instskip(SKIP_1) | instid1(VALU_DEP_1)
	v_add_f64_e32 v[10:11], v[10:11], v[22:23]
	s_wait_dscnt 0x0
	v_add_f64_e32 v[10:11], v[10:11], v[24:25]
	s_delay_alu instid0(VALU_DEP_1) | instskip(SKIP_4) | instid1(VALU_DEP_1)
	v_add_f64_e32 v[20:21], v[10:11], v[26:27]
	ds_load_2addr_b64 v[10:13], v17 offset1:1
	ds_load_b64 v[22:23], v3 offset:16440
	s_wait_dscnt 0x1
	v_add_f64_e32 v[10:11], v[20:21], v[10:11]
	v_add_f64_e32 v[10:11], v[10:11], v[12:13]
	s_wait_dscnt 0x0
	s_delay_alu instid0(VALU_DEP_1)
	v_add_f64_e32 v[12:13], v[10:11], v[22:23]
.LBB12_15:                              ;   in Loop: Header=BB12_6 Depth=1
	s_or_b32 exec_lo, exec_lo, s10
	s_delay_alu instid0(SALU_CYCLE_1)
	s_and_b32 vcc_lo, exec_lo, s9
	s_cbranch_vccnz .LBB12_18
.LBB12_16:                              ;   in Loop: Header=BB12_6 Depth=1
	s_delay_alu instid0(VALU_DEP_1)
	v_mov_b64_e32 v[8:9], v[12:13]
	s_and_saveexec_b32 s9, s7
	s_cbranch_execnz .LBB12_19
	s_branch .LBB12_20
.LBB12_17:                              ;   in Loop: Header=BB12_6 Depth=1
	s_mov_b32 s7, 0
                                        ; implicit-def: $vgpr12_vgpr13
	s_cbranch_execz .LBB12_16
.LBB12_18:                              ;   in Loop: Header=BB12_6 Depth=1
	s_and_not1_b32 s7, s7, exec_lo
	s_and_b32 s9, s0, exec_lo
	s_delay_alu instid0(SALU_CYCLE_1) | instskip(NEXT) | instid1(SALU_CYCLE_1)
	s_or_b32 s7, s7, s9
	s_and_saveexec_b32 s9, s7
.LBB12_19:                              ;   in Loop: Header=BB12_6 Depth=1
	ds_store_b64 v3, v[8:9] offset:16384
.LBB12_20:                              ;   in Loop: Header=BB12_6 Depth=1
	s_or_b32 exec_lo, exec_lo, s9
	s_wait_dscnt 0x0
	s_barrier_signal -1
	s_barrier_wait -1
	s_and_saveexec_b32 s7, s2
	s_cbranch_execz .LBB12_5
; %bb.21:                               ;   in Loop: Header=BB12_6 Depth=1
	global_load_b64 v[8:9], v3, s[4:5]
	ds_load_b64 v[10:11], v3 offset:16384
	s_mov_b32 s9, 0
	s_wait_loadcnt_dscnt 0x0
	v_dual_mul_f64 v[8:9], v[10:11], -v[8:9] :: v_dual_mov_b32 v11, v0
	v_mov_b32_e32 v10, v2
.LBB12_22:                              ;   Parent Loop BB12_6 Depth=1
                                        ; =>  This Inner Loop Header: Depth=2
	flat_load_b64 v[12:13], v[6:7]
	ds_load_b64 v[20:21], v10
	v_add_nc_u32_e32 v11, 0x100, v11
	v_add_nc_u32_e32 v10, 0x800, v10
	s_delay_alu instid0(VALU_DEP_2)
	v_cmp_le_i32_e32 vcc_lo, s12, v11
	s_or_b32 s9, vcc_lo, s9
	s_wait_loadcnt_dscnt 0x0
	v_fmac_f64_e32 v[12:13], v[8:9], v[20:21]
	flat_store_b64 v[6:7], v[12:13]
	s_wait_xcnt 0x0
	v_add_nc_u64_e32 v[6:7], 0x800, v[6:7]
	s_and_not1_b32 exec_lo, exec_lo, s9
	s_cbranch_execnz .LBB12_22
	s_branch .LBB12_5
.LBB12_23:
	s_endpgm
	.section	.rodata,"a",@progbits
	.p2align	6, 0x0
	.amdhsa_kernel _ZN9rocsolver6v33100L22larf_left_kernel_smallILi256EdiPKPdEEvT1_S5_T2_lS5_lPKT0_lS6_lS5_l
		.amdhsa_group_segment_fixed_size 18432
		.amdhsa_private_segment_fixed_size 0
		.amdhsa_kernarg_size 88
		.amdhsa_user_sgpr_count 2
		.amdhsa_user_sgpr_dispatch_ptr 0
		.amdhsa_user_sgpr_queue_ptr 0
		.amdhsa_user_sgpr_kernarg_segment_ptr 1
		.amdhsa_user_sgpr_dispatch_id 0
		.amdhsa_user_sgpr_kernarg_preload_length 0
		.amdhsa_user_sgpr_kernarg_preload_offset 0
		.amdhsa_user_sgpr_private_segment_size 0
		.amdhsa_wavefront_size32 1
		.amdhsa_uses_dynamic_stack 0
		.amdhsa_enable_private_segment 0
		.amdhsa_system_sgpr_workgroup_id_x 1
		.amdhsa_system_sgpr_workgroup_id_y 1
		.amdhsa_system_sgpr_workgroup_id_z 0
		.amdhsa_system_sgpr_workgroup_info 0
		.amdhsa_system_vgpr_workitem_id 0
		.amdhsa_next_free_vgpr 28
		.amdhsa_next_free_sgpr 26
		.amdhsa_named_barrier_count 0
		.amdhsa_reserve_vcc 1
		.amdhsa_float_round_mode_32 0
		.amdhsa_float_round_mode_16_64 0
		.amdhsa_float_denorm_mode_32 3
		.amdhsa_float_denorm_mode_16_64 3
		.amdhsa_fp16_overflow 0
		.amdhsa_memory_ordered 1
		.amdhsa_forward_progress 1
		.amdhsa_inst_pref_size 10
		.amdhsa_round_robin_scheduling 0
		.amdhsa_exception_fp_ieee_invalid_op 0
		.amdhsa_exception_fp_denorm_src 0
		.amdhsa_exception_fp_ieee_div_zero 0
		.amdhsa_exception_fp_ieee_overflow 0
		.amdhsa_exception_fp_ieee_underflow 0
		.amdhsa_exception_fp_ieee_inexact 0
		.amdhsa_exception_int_div_zero 0
	.end_amdhsa_kernel
	.section	.text._ZN9rocsolver6v33100L22larf_left_kernel_smallILi256EdiPKPdEEvT1_S5_T2_lS5_lPKT0_lS6_lS5_l,"axG",@progbits,_ZN9rocsolver6v33100L22larf_left_kernel_smallILi256EdiPKPdEEvT1_S5_T2_lS5_lPKT0_lS6_lS5_l,comdat
.Lfunc_end12:
	.size	_ZN9rocsolver6v33100L22larf_left_kernel_smallILi256EdiPKPdEEvT1_S5_T2_lS5_lPKT0_lS6_lS5_l, .Lfunc_end12-_ZN9rocsolver6v33100L22larf_left_kernel_smallILi256EdiPKPdEEvT1_S5_T2_lS5_lPKT0_lS6_lS5_l
                                        ; -- End function
	.set _ZN9rocsolver6v33100L22larf_left_kernel_smallILi256EdiPKPdEEvT1_S5_T2_lS5_lPKT0_lS6_lS5_l.num_vgpr, 28
	.set _ZN9rocsolver6v33100L22larf_left_kernel_smallILi256EdiPKPdEEvT1_S5_T2_lS5_lPKT0_lS6_lS5_l.num_agpr, 0
	.set _ZN9rocsolver6v33100L22larf_left_kernel_smallILi256EdiPKPdEEvT1_S5_T2_lS5_lPKT0_lS6_lS5_l.numbered_sgpr, 26
	.set _ZN9rocsolver6v33100L22larf_left_kernel_smallILi256EdiPKPdEEvT1_S5_T2_lS5_lPKT0_lS6_lS5_l.num_named_barrier, 0
	.set _ZN9rocsolver6v33100L22larf_left_kernel_smallILi256EdiPKPdEEvT1_S5_T2_lS5_lPKT0_lS6_lS5_l.private_seg_size, 0
	.set _ZN9rocsolver6v33100L22larf_left_kernel_smallILi256EdiPKPdEEvT1_S5_T2_lS5_lPKT0_lS6_lS5_l.uses_vcc, 1
	.set _ZN9rocsolver6v33100L22larf_left_kernel_smallILi256EdiPKPdEEvT1_S5_T2_lS5_lPKT0_lS6_lS5_l.uses_flat_scratch, 0
	.set _ZN9rocsolver6v33100L22larf_left_kernel_smallILi256EdiPKPdEEvT1_S5_T2_lS5_lPKT0_lS6_lS5_l.has_dyn_sized_stack, 0
	.set _ZN9rocsolver6v33100L22larf_left_kernel_smallILi256EdiPKPdEEvT1_S5_T2_lS5_lPKT0_lS6_lS5_l.has_recursion, 0
	.set _ZN9rocsolver6v33100L22larf_left_kernel_smallILi256EdiPKPdEEvT1_S5_T2_lS5_lPKT0_lS6_lS5_l.has_indirect_call, 0
	.section	.AMDGPU.csdata,"",@progbits
; Kernel info:
; codeLenInByte = 1204
; TotalNumSgprs: 28
; NumVgprs: 28
; ScratchSize: 0
; MemoryBound: 0
; FloatMode: 240
; IeeeMode: 1
; LDSByteSize: 18432 bytes/workgroup (compile time only)
; SGPRBlocks: 0
; VGPRBlocks: 1
; NumSGPRsForWavesPerEU: 28
; NumVGPRsForWavesPerEU: 28
; NamedBarCnt: 0
; Occupancy: 16
; WaveLimiterHint : 1
; COMPUTE_PGM_RSRC2:SCRATCH_EN: 0
; COMPUTE_PGM_RSRC2:USER_SGPR: 2
; COMPUTE_PGM_RSRC2:TRAP_HANDLER: 0
; COMPUTE_PGM_RSRC2:TGID_X_EN: 1
; COMPUTE_PGM_RSRC2:TGID_Y_EN: 1
; COMPUTE_PGM_RSRC2:TGID_Z_EN: 0
; COMPUTE_PGM_RSRC2:TIDIG_COMP_CNT: 0
	.section	.text._ZN9rocsolver6v33100L22larf_left_kernel_smallILi512EdiPKPdEEvT1_S5_T2_lS5_lPKT0_lS6_lS5_l,"axG",@progbits,_ZN9rocsolver6v33100L22larf_left_kernel_smallILi512EdiPKPdEEvT1_S5_T2_lS5_lPKT0_lS6_lS5_l,comdat
	.globl	_ZN9rocsolver6v33100L22larf_left_kernel_smallILi512EdiPKPdEEvT1_S5_T2_lS5_lPKT0_lS6_lS5_l ; -- Begin function _ZN9rocsolver6v33100L22larf_left_kernel_smallILi512EdiPKPdEEvT1_S5_T2_lS5_lPKT0_lS6_lS5_l
	.p2align	8
	.type	_ZN9rocsolver6v33100L22larf_left_kernel_smallILi512EdiPKPdEEvT1_S5_T2_lS5_lPKT0_lS6_lS5_l,@function
_ZN9rocsolver6v33100L22larf_left_kernel_smallILi512EdiPKPdEEvT1_S5_T2_lS5_lPKT0_lS6_lS5_l: ; @_ZN9rocsolver6v33100L22larf_left_kernel_smallILi512EdiPKPdEEvT1_S5_T2_lS5_lPKT0_lS6_lS5_l
; %bb.0:
	s_load_b256 s[4:11], s[0:1], 0x28
	s_bfe_u32 s2, ttmp6, 0x4000c
	s_and_b32 s12, ttmp6, 15
	s_add_co_i32 s2, s2, 1
	s_getreg_b32 s3, hwreg(HW_REG_IB_STS2, 6, 4)
	s_mul_i32 s2, ttmp9, s2
	v_lshlrev_b32_e32 v2, 3, v0
	s_add_co_i32 s12, s12, s2
	s_cmp_eq_u32 s3, 0
	s_mov_b32 s19, 0
	s_cselect_b32 s14, ttmp9, s12
	s_load_b64 s[12:13], s[0:1], 0x0
	s_ashr_i32 s15, s14, 31
	s_delay_alu instid0(SALU_CYCLE_1)
	s_lshl_b64 s[16:17], s[14:15], 3
	s_wait_kmcnt 0x0
	s_add_nc_u64 s[8:9], s[8:9], s[16:17]
	s_load_b64 s[8:9], s[8:9], 0x0
	v_cmp_gt_i32_e64 s2, s12, v0
	s_and_saveexec_b32 s18, s2
	s_cbranch_execz .LBB13_3
; %bb.1:
	s_clause 0x1
	s_load_b128 s[20:23], s[0:1], 0x8
	s_load_b32 s24, s[0:1], 0x18
	s_sub_co_i32 s25, 1, s12
	v_dual_mov_b32 v4, v0 :: v_dual_lshlrev_b32 v3, 3, v0
	s_wait_kmcnt 0x0
	s_add_nc_u64 s[16:17], s[20:21], s[16:17]
	s_lshl_b64 s[20:21], s[22:23], 3
	s_load_b64 s[16:17], s[16:17], 0x0
	s_mul_i32 s22, s24, s25
	s_cmp_lt_i32 s24, 1
	s_cselect_b32 s22, s22, 0
	s_delay_alu instid0(SALU_CYCLE_1)
	v_mad_u32 v1, v0, s24, s22
	s_wait_kmcnt 0x0
	s_add_nc_u64 s[16:17], s[16:17], s[20:21]
	s_lshl_b32 s20, s24, 9
.LBB13_2:                               ; =>This Inner Loop Header: Depth=1
	flat_load_b64 v[6:7], v1, s[16:17] scale_offset
	v_add_nc_u32_e32 v4, 0x200, v4
	s_wait_xcnt 0x0
	v_add_nc_u32_e32 v1, s20, v1
	s_delay_alu instid0(VALU_DEP_2)
	v_cmp_le_i32_e32 vcc_lo, s12, v4
	s_or_b32 s19, vcc_lo, s19
	s_wait_loadcnt_dscnt 0x0
	ds_store_b64 v3, v[6:7]
	v_add_nc_u32_e32 v3, 0x1000, v3
	s_and_not1_b32 exec_lo, exec_lo, s19
	s_cbranch_execnz .LBB13_2
.LBB13_3:
	s_or_b32 exec_lo, exec_lo, s18
	s_bfe_u32 s16, ttmp6, 0x40010
	s_bfe_u32 s17, ttmp6, 0x40004
	s_add_co_i32 s16, s16, 1
	s_wait_dscnt 0x0
	s_mul_i32 s16, ttmp7, s16
	s_barrier_signal -1
	s_add_co_i32 s17, s17, s16
	s_cmp_eq_u32 s3, 0
	s_barrier_wait -1
	s_cselect_b32 s3, ttmp7, s17
	s_delay_alu instid0(SALU_CYCLE_1)
	s_cmp_ge_i32 s3, s13
	s_cbranch_scc1 .LBB13_23
; %bb.4:
	s_load_b32 s16, s[0:1], 0x48
	s_wait_xcnt 0x0
	s_mul_u64 s[0:1], s[6:7], s[14:15]
	v_dual_mov_b32 v3, 0 :: v_dual_bitop2_b32 v1, 31, v0 bitop3:0x40
	s_lshl_b64 s[6:7], s[0:1], 3
	s_cmp_gt_i32 s12, 1
	v_dual_mov_b32 v17, 0x4018 :: v_dual_lshrrev_b32 v14, 2, v0
	s_cselect_b32 s14, -1, 0
	s_lshl_b64 s[10:11], s[10:11], 3
	v_cmp_eq_u32_e64 s0, 0, v1
	v_mbcnt_lo_u32_b32 v1, -1, 0
	s_wait_kmcnt 0x0
	s_add_nc_u64 s[8:9], s[8:9], s[10:11]
	v_cmp_eq_u32_e64 s1, 0, v0
	v_add_nc_u64_e32 v[4:5], s[8:9], v[2:3]
	v_mov_b32_e32 v16, 0x4008
	v_lshl_or_b32 v15, v1, 2, 64
	v_mov_b32_e32 v18, 0x4028
	v_mov_b32_e32 v19, 0x4038
	;; [unrolled: 1-line block ×5, first 2 shown]
	s_add_nc_u64 s[4:5], s[4:5], s[6:7]
	s_mul_i32 s6, s3, s16
	s_lshl_b32 s8, s16, 6
	s_branch .LBB13_6
.LBB13_5:                               ;   in Loop: Header=BB13_6 Depth=1
	s_or_b32 exec_lo, exec_lo, s7
	s_add_co_i32 s3, s3, 64
	s_add_co_i32 s6, s6, s8
	s_cmp_ge_i32 s3, s13
	s_cbranch_scc1 .LBB13_23
.LBB13_6:                               ; =>This Loop Header: Depth=1
                                        ;     Child Loop BB13_8 Depth 2
                                        ;     Child Loop BB13_22 Depth 2
	s_ashr_i32 s7, s6, 31
	v_mov_b64_e32 v[8:9], 0
	v_lshl_add_u64 v[6:7], s[6:7], 3, v[4:5]
	s_and_saveexec_b32 s7, s2
	s_cbranch_execz .LBB13_10
; %bb.7:                                ;   in Loop: Header=BB13_6 Depth=1
	v_mov_b64_e32 v[8:9], 0
	s_delay_alu instid0(VALU_DEP_2)
	v_mov_b64_e32 v[10:11], v[6:7]
	v_dual_mov_b32 v12, v2 :: v_dual_mov_b32 v13, v0
	s_mov_b32 s9, 0
.LBB13_8:                               ;   Parent Loop BB13_6 Depth=1
                                        ; =>  This Inner Loop Header: Depth=2
	flat_load_b64 v[24:25], v[10:11]
	ds_load_b64 v[26:27], v12
	v_add_nc_u32_e32 v13, 0x200, v13
	s_wait_xcnt 0x0
	v_add_nc_u64_e32 v[10:11], 0x1000, v[10:11]
	v_add_nc_u32_e32 v12, 0x1000, v12
	s_delay_alu instid0(VALU_DEP_3)
	v_cmp_le_i32_e32 vcc_lo, s12, v13
	s_or_b32 s9, vcc_lo, s9
	s_wait_loadcnt_dscnt 0x0
	v_fmac_f64_e32 v[8:9], v[26:27], v[24:25]
	s_and_not1_b32 exec_lo, exec_lo, s9
	s_cbranch_execnz .LBB13_8
; %bb.9:                                ;   in Loop: Header=BB13_6 Depth=1
	s_or_b32 exec_lo, exec_lo, s9
.LBB13_10:                              ;   in Loop: Header=BB13_6 Depth=1
	s_delay_alu instid0(SALU_CYCLE_1) | instskip(NEXT) | instid1(SALU_CYCLE_1)
	s_or_b32 exec_lo, exec_lo, s7
	s_and_b32 vcc_lo, exec_lo, s14
	s_cbranch_vccz .LBB13_17
; %bb.11:                               ;   in Loop: Header=BB13_6 Depth=1
	v_cmp_ne_u32_e32 vcc_lo, 31, v1
	v_add_co_ci_u32_e64 v10, null, 0, v1, vcc_lo
	v_cmp_gt_u32_e32 vcc_lo, 30, v1
	s_delay_alu instid0(VALU_DEP_2)
	v_lshlrev_b32_e32 v11, 2, v10
	v_cndmask_b32_e64 v12, 0, 2, vcc_lo
	v_cmp_gt_u32_e32 vcc_lo, 28, v1
	ds_bpermute_b32 v10, v11, v8
	ds_bpermute_b32 v11, v11, v9
	v_add_lshl_u32 v13, v12, v1, 2
	s_wait_dscnt 0x0
	v_add_f64_e32 v[10:11], v[8:9], v[10:11]
	ds_bpermute_b32 v12, v13, v10
	ds_bpermute_b32 v13, v13, v11
	s_wait_dscnt 0x0
	v_add_f64_e32 v[10:11], v[10:11], v[12:13]
	v_cndmask_b32_e64 v12, 0, 4, vcc_lo
	v_cmp_gt_u32_e32 vcc_lo, 24, v1
	s_delay_alu instid0(VALU_DEP_2)
	v_add_lshl_u32 v13, v12, v1, 2
	ds_bpermute_b32 v12, v13, v10
	ds_bpermute_b32 v13, v13, v11
	s_wait_dscnt 0x0
	v_add_f64_e32 v[10:11], v[10:11], v[12:13]
	v_cndmask_b32_e64 v12, 0, 8, vcc_lo
	s_delay_alu instid0(VALU_DEP_1)
	v_add_lshl_u32 v13, v12, v1, 2
	ds_bpermute_b32 v12, v13, v10
	ds_bpermute_b32 v13, v13, v11
	s_wait_dscnt 0x0
	v_add_f64_e32 v[10:11], v[10:11], v[12:13]
	ds_bpermute_b32 v12, v15, v10
	ds_bpermute_b32 v13, v15, v11
	s_wait_dscnt 0x0
	v_add_f64_e32 v[10:11], v[10:11], v[12:13]
	s_and_saveexec_b32 s7, s0
; %bb.12:                               ;   in Loop: Header=BB13_6 Depth=1
	ds_store_b64 v14, v[10:11] offset:16384
; %bb.13:                               ;   in Loop: Header=BB13_6 Depth=1
	s_or_b32 exec_lo, exec_lo, s7
	s_mov_b32 s9, 0
	s_mov_b32 s7, 0
	s_wait_dscnt 0x0
	s_barrier_signal -1
	s_barrier_wait -1
                                        ; implicit-def: $vgpr12_vgpr13
	s_and_saveexec_b32 s10, s1
	s_delay_alu instid0(SALU_CYCLE_1)
	s_xor_b32 s10, exec_lo, s10
	s_cbranch_execz .LBB13_15
; %bb.14:                               ;   in Loop: Header=BB13_6 Depth=1
	ds_load_2addr_b64 v[24:27], v16 offset1:1
	ds_load_2addr_b64 v[28:31], v17 offset1:1
	s_mov_b32 s7, exec_lo
	s_wait_dscnt 0x1
	v_add_f64_e32 v[10:11], v[10:11], v[24:25]
	s_delay_alu instid0(VALU_DEP_1) | instskip(SKIP_1) | instid1(VALU_DEP_1)
	v_add_f64_e32 v[10:11], v[10:11], v[26:27]
	s_wait_dscnt 0x0
	v_add_f64_e32 v[10:11], v[10:11], v[28:29]
	s_delay_alu instid0(VALU_DEP_1) | instskip(SKIP_4) | instid1(VALU_DEP_1)
	v_add_f64_e32 v[28:29], v[10:11], v[30:31]
	ds_load_2addr_b64 v[10:13], v18 offset1:1
	ds_load_2addr_b64 v[24:27], v19 offset1:1
	s_wait_dscnt 0x1
	v_add_f64_e32 v[10:11], v[28:29], v[10:11]
	v_add_f64_e32 v[10:11], v[10:11], v[12:13]
	s_wait_dscnt 0x0
	s_delay_alu instid0(VALU_DEP_1) | instskip(NEXT) | instid1(VALU_DEP_1)
	v_add_f64_e32 v[10:11], v[10:11], v[24:25]
	v_add_f64_e32 v[28:29], v[10:11], v[26:27]
	ds_load_2addr_b64 v[10:13], v20 offset1:1
	ds_load_2addr_b64 v[24:27], v21 offset1:1
	s_wait_dscnt 0x1
	v_add_f64_e32 v[10:11], v[28:29], v[10:11]
	s_delay_alu instid0(VALU_DEP_1) | instskip(SKIP_1) | instid1(VALU_DEP_1)
	v_add_f64_e32 v[10:11], v[10:11], v[12:13]
	s_wait_dscnt 0x0
	v_add_f64_e32 v[10:11], v[10:11], v[24:25]
	s_delay_alu instid0(VALU_DEP_1) | instskip(SKIP_4) | instid1(VALU_DEP_1)
	v_add_f64_e32 v[24:25], v[10:11], v[26:27]
	ds_load_2addr_b64 v[10:13], v22 offset1:1
	ds_load_b64 v[26:27], v3 offset:16504
	s_wait_dscnt 0x1
	v_add_f64_e32 v[10:11], v[24:25], v[10:11]
	v_add_f64_e32 v[10:11], v[10:11], v[12:13]
	s_wait_dscnt 0x0
	s_delay_alu instid0(VALU_DEP_1)
	v_add_f64_e32 v[12:13], v[10:11], v[26:27]
.LBB13_15:                              ;   in Loop: Header=BB13_6 Depth=1
	s_or_b32 exec_lo, exec_lo, s10
	s_delay_alu instid0(SALU_CYCLE_1)
	s_and_b32 vcc_lo, exec_lo, s9
	s_cbranch_vccnz .LBB13_18
.LBB13_16:                              ;   in Loop: Header=BB13_6 Depth=1
	s_delay_alu instid0(VALU_DEP_1)
	v_mov_b64_e32 v[8:9], v[12:13]
	s_and_saveexec_b32 s9, s7
	s_cbranch_execnz .LBB13_19
	s_branch .LBB13_20
.LBB13_17:                              ;   in Loop: Header=BB13_6 Depth=1
	s_mov_b32 s7, 0
                                        ; implicit-def: $vgpr12_vgpr13
	s_cbranch_execz .LBB13_16
.LBB13_18:                              ;   in Loop: Header=BB13_6 Depth=1
	s_and_not1_b32 s7, s7, exec_lo
	s_and_b32 s9, s1, exec_lo
	s_delay_alu instid0(SALU_CYCLE_1) | instskip(NEXT) | instid1(SALU_CYCLE_1)
	s_or_b32 s7, s7, s9
	s_and_saveexec_b32 s9, s7
.LBB13_19:                              ;   in Loop: Header=BB13_6 Depth=1
	ds_store_b64 v3, v[8:9] offset:16384
.LBB13_20:                              ;   in Loop: Header=BB13_6 Depth=1
	s_or_b32 exec_lo, exec_lo, s9
	s_wait_dscnt 0x0
	s_barrier_signal -1
	s_barrier_wait -1
	s_and_saveexec_b32 s7, s2
	s_cbranch_execz .LBB13_5
; %bb.21:                               ;   in Loop: Header=BB13_6 Depth=1
	global_load_b64 v[8:9], v3, s[4:5]
	ds_load_b64 v[10:11], v3 offset:16384
	s_mov_b32 s9, 0
	s_wait_loadcnt_dscnt 0x0
	v_dual_mul_f64 v[8:9], v[10:11], -v[8:9] :: v_dual_mov_b32 v11, v0
	v_mov_b32_e32 v10, v2
.LBB13_22:                              ;   Parent Loop BB13_6 Depth=1
                                        ; =>  This Inner Loop Header: Depth=2
	flat_load_b64 v[12:13], v[6:7]
	ds_load_b64 v[24:25], v10
	v_add_nc_u32_e32 v11, 0x200, v11
	v_add_nc_u32_e32 v10, 0x1000, v10
	s_delay_alu instid0(VALU_DEP_2)
	v_cmp_le_i32_e32 vcc_lo, s12, v11
	s_or_b32 s9, vcc_lo, s9
	s_wait_loadcnt_dscnt 0x0
	v_fmac_f64_e32 v[12:13], v[8:9], v[24:25]
	flat_store_b64 v[6:7], v[12:13]
	s_wait_xcnt 0x0
	v_add_nc_u64_e32 v[6:7], 0x1000, v[6:7]
	s_and_not1_b32 exec_lo, exec_lo, s9
	s_cbranch_execnz .LBB13_22
	s_branch .LBB13_5
.LBB13_23:
	s_endpgm
	.section	.rodata,"a",@progbits
	.p2align	6, 0x0
	.amdhsa_kernel _ZN9rocsolver6v33100L22larf_left_kernel_smallILi512EdiPKPdEEvT1_S5_T2_lS5_lPKT0_lS6_lS5_l
		.amdhsa_group_segment_fixed_size 20480
		.amdhsa_private_segment_fixed_size 0
		.amdhsa_kernarg_size 88
		.amdhsa_user_sgpr_count 2
		.amdhsa_user_sgpr_dispatch_ptr 0
		.amdhsa_user_sgpr_queue_ptr 0
		.amdhsa_user_sgpr_kernarg_segment_ptr 1
		.amdhsa_user_sgpr_dispatch_id 0
		.amdhsa_user_sgpr_kernarg_preload_length 0
		.amdhsa_user_sgpr_kernarg_preload_offset 0
		.amdhsa_user_sgpr_private_segment_size 0
		.amdhsa_wavefront_size32 1
		.amdhsa_uses_dynamic_stack 0
		.amdhsa_enable_private_segment 0
		.amdhsa_system_sgpr_workgroup_id_x 1
		.amdhsa_system_sgpr_workgroup_id_y 1
		.amdhsa_system_sgpr_workgroup_id_z 0
		.amdhsa_system_sgpr_workgroup_info 0
		.amdhsa_system_vgpr_workitem_id 0
		.amdhsa_next_free_vgpr 32
		.amdhsa_next_free_sgpr 26
		.amdhsa_named_barrier_count 0
		.amdhsa_reserve_vcc 1
		.amdhsa_float_round_mode_32 0
		.amdhsa_float_round_mode_16_64 0
		.amdhsa_float_denorm_mode_32 3
		.amdhsa_float_denorm_mode_16_64 3
		.amdhsa_fp16_overflow 0
		.amdhsa_memory_ordered 1
		.amdhsa_forward_progress 1
		.amdhsa_inst_pref_size 11
		.amdhsa_round_robin_scheduling 0
		.amdhsa_exception_fp_ieee_invalid_op 0
		.amdhsa_exception_fp_denorm_src 0
		.amdhsa_exception_fp_ieee_div_zero 0
		.amdhsa_exception_fp_ieee_overflow 0
		.amdhsa_exception_fp_ieee_underflow 0
		.amdhsa_exception_fp_ieee_inexact 0
		.amdhsa_exception_int_div_zero 0
	.end_amdhsa_kernel
	.section	.text._ZN9rocsolver6v33100L22larf_left_kernel_smallILi512EdiPKPdEEvT1_S5_T2_lS5_lPKT0_lS6_lS5_l,"axG",@progbits,_ZN9rocsolver6v33100L22larf_left_kernel_smallILi512EdiPKPdEEvT1_S5_T2_lS5_lPKT0_lS6_lS5_l,comdat
.Lfunc_end13:
	.size	_ZN9rocsolver6v33100L22larf_left_kernel_smallILi512EdiPKPdEEvT1_S5_T2_lS5_lPKT0_lS6_lS5_l, .Lfunc_end13-_ZN9rocsolver6v33100L22larf_left_kernel_smallILi512EdiPKPdEEvT1_S5_T2_lS5_lPKT0_lS6_lS5_l
                                        ; -- End function
	.set _ZN9rocsolver6v33100L22larf_left_kernel_smallILi512EdiPKPdEEvT1_S5_T2_lS5_lPKT0_lS6_lS5_l.num_vgpr, 32
	.set _ZN9rocsolver6v33100L22larf_left_kernel_smallILi512EdiPKPdEEvT1_S5_T2_lS5_lPKT0_lS6_lS5_l.num_agpr, 0
	.set _ZN9rocsolver6v33100L22larf_left_kernel_smallILi512EdiPKPdEEvT1_S5_T2_lS5_lPKT0_lS6_lS5_l.numbered_sgpr, 26
	.set _ZN9rocsolver6v33100L22larf_left_kernel_smallILi512EdiPKPdEEvT1_S5_T2_lS5_lPKT0_lS6_lS5_l.num_named_barrier, 0
	.set _ZN9rocsolver6v33100L22larf_left_kernel_smallILi512EdiPKPdEEvT1_S5_T2_lS5_lPKT0_lS6_lS5_l.private_seg_size, 0
	.set _ZN9rocsolver6v33100L22larf_left_kernel_smallILi512EdiPKPdEEvT1_S5_T2_lS5_lPKT0_lS6_lS5_l.uses_vcc, 1
	.set _ZN9rocsolver6v33100L22larf_left_kernel_smallILi512EdiPKPdEEvT1_S5_T2_lS5_lPKT0_lS6_lS5_l.uses_flat_scratch, 0
	.set _ZN9rocsolver6v33100L22larf_left_kernel_smallILi512EdiPKPdEEvT1_S5_T2_lS5_lPKT0_lS6_lS5_l.has_dyn_sized_stack, 0
	.set _ZN9rocsolver6v33100L22larf_left_kernel_smallILi512EdiPKPdEEvT1_S5_T2_lS5_lPKT0_lS6_lS5_l.has_recursion, 0
	.set _ZN9rocsolver6v33100L22larf_left_kernel_smallILi512EdiPKPdEEvT1_S5_T2_lS5_lPKT0_lS6_lS5_l.has_indirect_call, 0
	.section	.AMDGPU.csdata,"",@progbits
; Kernel info:
; codeLenInByte = 1332
; TotalNumSgprs: 28
; NumVgprs: 32
; ScratchSize: 0
; MemoryBound: 0
; FloatMode: 240
; IeeeMode: 1
; LDSByteSize: 20480 bytes/workgroup (compile time only)
; SGPRBlocks: 0
; VGPRBlocks: 1
; NumSGPRsForWavesPerEU: 28
; NumVGPRsForWavesPerEU: 32
; NamedBarCnt: 0
; Occupancy: 16
; WaveLimiterHint : 1
; COMPUTE_PGM_RSRC2:SCRATCH_EN: 0
; COMPUTE_PGM_RSRC2:USER_SGPR: 2
; COMPUTE_PGM_RSRC2:TRAP_HANDLER: 0
; COMPUTE_PGM_RSRC2:TGID_X_EN: 1
; COMPUTE_PGM_RSRC2:TGID_Y_EN: 1
; COMPUTE_PGM_RSRC2:TGID_Z_EN: 0
; COMPUTE_PGM_RSRC2:TIDIG_COMP_CNT: 0
	.section	.text._ZN9rocsolver6v33100L22larf_left_kernel_smallILi1024EdiPKPdEEvT1_S5_T2_lS5_lPKT0_lS6_lS5_l,"axG",@progbits,_ZN9rocsolver6v33100L22larf_left_kernel_smallILi1024EdiPKPdEEvT1_S5_T2_lS5_lPKT0_lS6_lS5_l,comdat
	.globl	_ZN9rocsolver6v33100L22larf_left_kernel_smallILi1024EdiPKPdEEvT1_S5_T2_lS5_lPKT0_lS6_lS5_l ; -- Begin function _ZN9rocsolver6v33100L22larf_left_kernel_smallILi1024EdiPKPdEEvT1_S5_T2_lS5_lPKT0_lS6_lS5_l
	.p2align	8
	.type	_ZN9rocsolver6v33100L22larf_left_kernel_smallILi1024EdiPKPdEEvT1_S5_T2_lS5_lPKT0_lS6_lS5_l,@function
_ZN9rocsolver6v33100L22larf_left_kernel_smallILi1024EdiPKPdEEvT1_S5_T2_lS5_lPKT0_lS6_lS5_l: ; @_ZN9rocsolver6v33100L22larf_left_kernel_smallILi1024EdiPKPdEEvT1_S5_T2_lS5_lPKT0_lS6_lS5_l
; %bb.0:
	s_load_b256 s[4:11], s[0:1], 0x28
	s_bfe_u32 s2, ttmp6, 0x4000c
	s_and_b32 s12, ttmp6, 15
	s_add_co_i32 s2, s2, 1
	s_getreg_b32 s3, hwreg(HW_REG_IB_STS2, 6, 4)
	s_mul_i32 s2, ttmp9, s2
	v_lshlrev_b32_e32 v2, 3, v0
	s_add_co_i32 s12, s12, s2
	s_cmp_eq_u32 s3, 0
	s_mov_b32 s19, 0
	s_cselect_b32 s14, ttmp9, s12
	s_load_b64 s[12:13], s[0:1], 0x0
	s_ashr_i32 s15, s14, 31
	s_delay_alu instid0(SALU_CYCLE_1)
	s_lshl_b64 s[16:17], s[14:15], 3
	s_wait_kmcnt 0x0
	s_add_nc_u64 s[8:9], s[8:9], s[16:17]
	s_load_b64 s[8:9], s[8:9], 0x0
	v_cmp_gt_i32_e64 s2, s12, v0
	s_and_saveexec_b32 s18, s2
	s_cbranch_execz .LBB14_3
; %bb.1:
	s_clause 0x1
	s_load_b128 s[20:23], s[0:1], 0x8
	s_load_b32 s24, s[0:1], 0x18
	s_sub_co_i32 s25, 1, s12
	v_dual_mov_b32 v4, v0 :: v_dual_lshlrev_b32 v3, 3, v0
	s_wait_kmcnt 0x0
	s_add_nc_u64 s[16:17], s[20:21], s[16:17]
	s_lshl_b64 s[20:21], s[22:23], 3
	s_load_b64 s[16:17], s[16:17], 0x0
	s_mul_i32 s22, s24, s25
	s_cmp_lt_i32 s24, 1
	s_cselect_b32 s22, s22, 0
	s_delay_alu instid0(SALU_CYCLE_1)
	v_mad_u32 v1, v0, s24, s22
	s_wait_kmcnt 0x0
	s_add_nc_u64 s[16:17], s[16:17], s[20:21]
	s_lshl_b32 s20, s24, 10
.LBB14_2:                               ; =>This Inner Loop Header: Depth=1
	flat_load_b64 v[6:7], v1, s[16:17] scale_offset
	v_add_nc_u32_e32 v4, 0x400, v4
	s_wait_xcnt 0x0
	v_add_nc_u32_e32 v1, s20, v1
	s_delay_alu instid0(VALU_DEP_2)
	v_cmp_le_i32_e32 vcc_lo, s12, v4
	s_or_b32 s19, vcc_lo, s19
	s_wait_loadcnt_dscnt 0x0
	ds_store_b64 v3, v[6:7]
	v_add_nc_u32_e32 v3, 0x2000, v3
	s_and_not1_b32 exec_lo, exec_lo, s19
	s_cbranch_execnz .LBB14_2
.LBB14_3:
	s_or_b32 exec_lo, exec_lo, s18
	s_bfe_u32 s16, ttmp6, 0x40010
	s_bfe_u32 s17, ttmp6, 0x40004
	s_add_co_i32 s16, s16, 1
	s_wait_dscnt 0x0
	s_mul_i32 s16, ttmp7, s16
	s_barrier_signal -1
	s_add_co_i32 s17, s17, s16
	s_cmp_eq_u32 s3, 0
	s_barrier_wait -1
	s_cselect_b32 s3, ttmp7, s17
	s_delay_alu instid0(SALU_CYCLE_1)
	s_cmp_ge_i32 s3, s13
	s_cbranch_scc1 .LBB14_23
; %bb.4:
	s_mul_u64 s[6:7], s[6:7], s[14:15]
	s_load_b32 s15, s[0:1], 0x48
	v_dual_mov_b32 v3, 0 :: v_dual_bitop2_b32 v1, 31, v0 bitop3:0x40
	s_lshl_b64 s[6:7], s[6:7], 3
	s_cmp_gt_i32 s12, 1
	v_dual_mov_b32 v17, 0x4018 :: v_dual_lshrrev_b32 v14, 2, v0
	s_cselect_b32 s14, -1, 0
	s_lshl_b64 s[10:11], s[10:11], 3
	s_wait_xcnt 0x0
	v_cmp_eq_u32_e64 s0, 0, v1
	v_mbcnt_lo_u32_b32 v1, -1, 0
	s_wait_kmcnt 0x0
	s_add_nc_u64 s[8:9], s[8:9], s[10:11]
	v_cmp_eq_u32_e64 s1, 0, v0
	v_add_nc_u64_e32 v[4:5], s[8:9], v[2:3]
	v_mov_b32_e32 v16, 0x4008
	v_lshl_or_b32 v15, v1, 2, 64
	v_mov_b32_e32 v18, 0x4028
	v_mov_b32_e32 v19, 0x4038
	;; [unrolled: 1-line block ×13, first 2 shown]
	s_add_nc_u64 s[4:5], s[4:5], s[6:7]
	s_mul_i32 s6, s3, s15
	s_lshl_b32 s8, s15, 6
	s_branch .LBB14_6
.LBB14_5:                               ;   in Loop: Header=BB14_6 Depth=1
	s_or_b32 exec_lo, exec_lo, s7
	s_add_co_i32 s3, s3, 64
	s_add_co_i32 s6, s6, s8
	s_cmp_ge_i32 s3, s13
	s_cbranch_scc1 .LBB14_23
.LBB14_6:                               ; =>This Loop Header: Depth=1
                                        ;     Child Loop BB14_8 Depth 2
                                        ;     Child Loop BB14_22 Depth 2
	s_ashr_i32 s7, s6, 31
	v_mov_b64_e32 v[8:9], 0
	v_lshl_add_u64 v[6:7], s[6:7], 3, v[4:5]
	s_and_saveexec_b32 s7, s2
	s_cbranch_execz .LBB14_10
; %bb.7:                                ;   in Loop: Header=BB14_6 Depth=1
	v_mov_b64_e32 v[8:9], 0
	s_delay_alu instid0(VALU_DEP_2)
	v_mov_b64_e32 v[10:11], v[6:7]
	v_dual_mov_b32 v12, v2 :: v_dual_mov_b32 v13, v0
	s_mov_b32 s9, 0
.LBB14_8:                               ;   Parent Loop BB14_6 Depth=1
                                        ; =>  This Inner Loop Header: Depth=2
	flat_load_b64 v[32:33], v[10:11]
	ds_load_b64 v[34:35], v12
	v_add_nc_u32_e32 v13, 0x400, v13
	s_wait_xcnt 0x0
	v_add_nc_u64_e32 v[10:11], 0x2000, v[10:11]
	v_add_nc_u32_e32 v12, 0x2000, v12
	s_delay_alu instid0(VALU_DEP_3)
	v_cmp_le_i32_e32 vcc_lo, s12, v13
	s_or_b32 s9, vcc_lo, s9
	s_wait_loadcnt_dscnt 0x0
	v_fmac_f64_e32 v[8:9], v[34:35], v[32:33]
	s_and_not1_b32 exec_lo, exec_lo, s9
	s_cbranch_execnz .LBB14_8
; %bb.9:                                ;   in Loop: Header=BB14_6 Depth=1
	s_or_b32 exec_lo, exec_lo, s9
.LBB14_10:                              ;   in Loop: Header=BB14_6 Depth=1
	s_delay_alu instid0(SALU_CYCLE_1) | instskip(NEXT) | instid1(SALU_CYCLE_1)
	s_or_b32 exec_lo, exec_lo, s7
	s_and_b32 vcc_lo, exec_lo, s14
	s_cbranch_vccz .LBB14_17
; %bb.11:                               ;   in Loop: Header=BB14_6 Depth=1
	v_cmp_ne_u32_e32 vcc_lo, 31, v1
	v_add_co_ci_u32_e64 v10, null, 0, v1, vcc_lo
	v_cmp_gt_u32_e32 vcc_lo, 30, v1
	s_delay_alu instid0(VALU_DEP_2)
	v_lshlrev_b32_e32 v11, 2, v10
	v_cndmask_b32_e64 v12, 0, 2, vcc_lo
	v_cmp_gt_u32_e32 vcc_lo, 28, v1
	ds_bpermute_b32 v10, v11, v8
	ds_bpermute_b32 v11, v11, v9
	v_add_lshl_u32 v13, v12, v1, 2
	s_wait_dscnt 0x0
	v_add_f64_e32 v[10:11], v[8:9], v[10:11]
	ds_bpermute_b32 v12, v13, v10
	ds_bpermute_b32 v13, v13, v11
	s_wait_dscnt 0x0
	v_add_f64_e32 v[10:11], v[10:11], v[12:13]
	v_cndmask_b32_e64 v12, 0, 4, vcc_lo
	v_cmp_gt_u32_e32 vcc_lo, 24, v1
	s_delay_alu instid0(VALU_DEP_2)
	v_add_lshl_u32 v13, v12, v1, 2
	ds_bpermute_b32 v12, v13, v10
	ds_bpermute_b32 v13, v13, v11
	s_wait_dscnt 0x0
	v_add_f64_e32 v[10:11], v[10:11], v[12:13]
	v_cndmask_b32_e64 v12, 0, 8, vcc_lo
	s_delay_alu instid0(VALU_DEP_1)
	v_add_lshl_u32 v13, v12, v1, 2
	ds_bpermute_b32 v12, v13, v10
	ds_bpermute_b32 v13, v13, v11
	s_wait_dscnt 0x0
	v_add_f64_e32 v[10:11], v[10:11], v[12:13]
	ds_bpermute_b32 v12, v15, v10
	ds_bpermute_b32 v13, v15, v11
	s_wait_dscnt 0x0
	v_add_f64_e32 v[10:11], v[10:11], v[12:13]
	s_and_saveexec_b32 s7, s0
; %bb.12:                               ;   in Loop: Header=BB14_6 Depth=1
	ds_store_b64 v14, v[10:11] offset:16384
; %bb.13:                               ;   in Loop: Header=BB14_6 Depth=1
	s_or_b32 exec_lo, exec_lo, s7
	s_mov_b32 s9, 0
	s_mov_b32 s7, 0
	s_wait_dscnt 0x0
	s_barrier_signal -1
	s_barrier_wait -1
                                        ; implicit-def: $vgpr12_vgpr13
	s_and_saveexec_b32 s10, s1
	s_delay_alu instid0(SALU_CYCLE_1)
	s_xor_b32 s10, exec_lo, s10
	s_cbranch_execz .LBB14_15
; %bb.14:                               ;   in Loop: Header=BB14_6 Depth=1
	ds_load_2addr_b64 v[32:35], v16 offset1:1
	ds_load_2addr_b64 v[36:39], v17 offset1:1
	s_mov_b32 s7, exec_lo
	s_wait_dscnt 0x1
	v_add_f64_e32 v[10:11], v[10:11], v[32:33]
	s_delay_alu instid0(VALU_DEP_1) | instskip(SKIP_1) | instid1(VALU_DEP_1)
	v_add_f64_e32 v[10:11], v[10:11], v[34:35]
	s_wait_dscnt 0x0
	v_add_f64_e32 v[10:11], v[10:11], v[36:37]
	s_delay_alu instid0(VALU_DEP_1) | instskip(SKIP_4) | instid1(VALU_DEP_1)
	v_add_f64_e32 v[36:37], v[10:11], v[38:39]
	ds_load_2addr_b64 v[10:13], v18 offset1:1
	ds_load_2addr_b64 v[32:35], v19 offset1:1
	s_wait_dscnt 0x1
	v_add_f64_e32 v[10:11], v[36:37], v[10:11]
	v_add_f64_e32 v[10:11], v[10:11], v[12:13]
	s_wait_dscnt 0x0
	s_delay_alu instid0(VALU_DEP_1) | instskip(NEXT) | instid1(VALU_DEP_1)
	v_add_f64_e32 v[10:11], v[10:11], v[32:33]
	v_add_f64_e32 v[36:37], v[10:11], v[34:35]
	ds_load_2addr_b64 v[10:13], v20 offset1:1
	ds_load_2addr_b64 v[32:35], v21 offset1:1
	s_wait_dscnt 0x1
	v_add_f64_e32 v[10:11], v[36:37], v[10:11]
	s_delay_alu instid0(VALU_DEP_1) | instskip(SKIP_1) | instid1(VALU_DEP_1)
	v_add_f64_e32 v[10:11], v[10:11], v[12:13]
	s_wait_dscnt 0x0
	v_add_f64_e32 v[10:11], v[10:11], v[32:33]
	s_delay_alu instid0(VALU_DEP_1) | instskip(SKIP_4) | instid1(VALU_DEP_1)
	v_add_f64_e32 v[36:37], v[10:11], v[34:35]
	ds_load_2addr_b64 v[10:13], v22 offset1:1
	ds_load_2addr_b64 v[32:35], v23 offset1:1
	s_wait_dscnt 0x1
	v_add_f64_e32 v[10:11], v[36:37], v[10:11]
	v_add_f64_e32 v[10:11], v[10:11], v[12:13]
	s_wait_dscnt 0x0
	s_delay_alu instid0(VALU_DEP_1) | instskip(NEXT) | instid1(VALU_DEP_1)
	v_add_f64_e32 v[10:11], v[10:11], v[32:33]
	v_add_f64_e32 v[36:37], v[10:11], v[34:35]
	ds_load_2addr_b64 v[10:13], v24 offset1:1
	ds_load_2addr_b64 v[32:35], v25 offset1:1
	;; [unrolled: 19-line block ×3, first 2 shown]
	s_wait_dscnt 0x1
	v_add_f64_e32 v[10:11], v[36:37], v[10:11]
	s_delay_alu instid0(VALU_DEP_1) | instskip(SKIP_1) | instid1(VALU_DEP_1)
	v_add_f64_e32 v[10:11], v[10:11], v[12:13]
	s_wait_dscnt 0x0
	v_add_f64_e32 v[10:11], v[10:11], v[32:33]
	s_delay_alu instid0(VALU_DEP_1) | instskip(SKIP_4) | instid1(VALU_DEP_1)
	v_add_f64_e32 v[32:33], v[10:11], v[34:35]
	ds_load_2addr_b64 v[10:13], v30 offset1:1
	ds_load_b64 v[34:35], v3 offset:16632
	s_wait_dscnt 0x1
	v_add_f64_e32 v[10:11], v[32:33], v[10:11]
	v_add_f64_e32 v[10:11], v[10:11], v[12:13]
	s_wait_dscnt 0x0
	s_delay_alu instid0(VALU_DEP_1)
	v_add_f64_e32 v[12:13], v[10:11], v[34:35]
.LBB14_15:                              ;   in Loop: Header=BB14_6 Depth=1
	s_or_b32 exec_lo, exec_lo, s10
	s_delay_alu instid0(SALU_CYCLE_1)
	s_and_b32 vcc_lo, exec_lo, s9
	s_cbranch_vccnz .LBB14_18
.LBB14_16:                              ;   in Loop: Header=BB14_6 Depth=1
	s_delay_alu instid0(VALU_DEP_1)
	v_mov_b64_e32 v[8:9], v[12:13]
	s_and_saveexec_b32 s9, s7
	s_cbranch_execnz .LBB14_19
	s_branch .LBB14_20
.LBB14_17:                              ;   in Loop: Header=BB14_6 Depth=1
	s_mov_b32 s7, 0
                                        ; implicit-def: $vgpr12_vgpr13
	s_cbranch_execz .LBB14_16
.LBB14_18:                              ;   in Loop: Header=BB14_6 Depth=1
	s_and_not1_b32 s7, s7, exec_lo
	s_and_b32 s9, s1, exec_lo
	s_delay_alu instid0(SALU_CYCLE_1) | instskip(NEXT) | instid1(SALU_CYCLE_1)
	s_or_b32 s7, s7, s9
	s_and_saveexec_b32 s9, s7
.LBB14_19:                              ;   in Loop: Header=BB14_6 Depth=1
	ds_store_b64 v3, v[8:9] offset:16384
.LBB14_20:                              ;   in Loop: Header=BB14_6 Depth=1
	s_or_b32 exec_lo, exec_lo, s9
	s_wait_dscnt 0x0
	s_barrier_signal -1
	s_barrier_wait -1
	s_and_saveexec_b32 s7, s2
	s_cbranch_execz .LBB14_5
; %bb.21:                               ;   in Loop: Header=BB14_6 Depth=1
	global_load_b64 v[8:9], v3, s[4:5]
	ds_load_b64 v[10:11], v3 offset:16384
	s_mov_b32 s9, 0
	s_wait_loadcnt_dscnt 0x0
	v_dual_mul_f64 v[8:9], v[10:11], -v[8:9] :: v_dual_mov_b32 v11, v0
	v_mov_b32_e32 v10, v2
.LBB14_22:                              ;   Parent Loop BB14_6 Depth=1
                                        ; =>  This Inner Loop Header: Depth=2
	flat_load_b64 v[12:13], v[6:7]
	ds_load_b64 v[32:33], v10
	v_add_nc_u32_e32 v11, 0x400, v11
	v_add_nc_u32_e32 v10, 0x2000, v10
	s_delay_alu instid0(VALU_DEP_2)
	v_cmp_le_i32_e32 vcc_lo, s12, v11
	s_or_b32 s9, vcc_lo, s9
	s_wait_loadcnt_dscnt 0x0
	v_fmac_f64_e32 v[12:13], v[8:9], v[32:33]
	flat_store_b64 v[6:7], v[12:13]
	s_wait_xcnt 0x0
	v_add_nc_u64_e32 v[6:7], 0x2000, v[6:7]
	s_and_not1_b32 exec_lo, exec_lo, s9
	s_cbranch_execnz .LBB14_22
	s_branch .LBB14_5
.LBB14_23:
	s_endpgm
	.section	.rodata,"a",@progbits
	.p2align	6, 0x0
	.amdhsa_kernel _ZN9rocsolver6v33100L22larf_left_kernel_smallILi1024EdiPKPdEEvT1_S5_T2_lS5_lPKT0_lS6_lS5_l
		.amdhsa_group_segment_fixed_size 24576
		.amdhsa_private_segment_fixed_size 0
		.amdhsa_kernarg_size 88
		.amdhsa_user_sgpr_count 2
		.amdhsa_user_sgpr_dispatch_ptr 0
		.amdhsa_user_sgpr_queue_ptr 0
		.amdhsa_user_sgpr_kernarg_segment_ptr 1
		.amdhsa_user_sgpr_dispatch_id 0
		.amdhsa_user_sgpr_kernarg_preload_length 0
		.amdhsa_user_sgpr_kernarg_preload_offset 0
		.amdhsa_user_sgpr_private_segment_size 0
		.amdhsa_wavefront_size32 1
		.amdhsa_uses_dynamic_stack 0
		.amdhsa_enable_private_segment 0
		.amdhsa_system_sgpr_workgroup_id_x 1
		.amdhsa_system_sgpr_workgroup_id_y 1
		.amdhsa_system_sgpr_workgroup_id_z 0
		.amdhsa_system_sgpr_workgroup_info 0
		.amdhsa_system_vgpr_workitem_id 0
		.amdhsa_next_free_vgpr 40
		.amdhsa_next_free_sgpr 26
		.amdhsa_named_barrier_count 0
		.amdhsa_reserve_vcc 1
		.amdhsa_float_round_mode_32 0
		.amdhsa_float_round_mode_16_64 0
		.amdhsa_float_denorm_mode_32 3
		.amdhsa_float_denorm_mode_16_64 3
		.amdhsa_fp16_overflow 0
		.amdhsa_memory_ordered 1
		.amdhsa_forward_progress 1
		.amdhsa_inst_pref_size 13
		.amdhsa_round_robin_scheduling 0
		.amdhsa_exception_fp_ieee_invalid_op 0
		.amdhsa_exception_fp_denorm_src 0
		.amdhsa_exception_fp_ieee_div_zero 0
		.amdhsa_exception_fp_ieee_overflow 0
		.amdhsa_exception_fp_ieee_underflow 0
		.amdhsa_exception_fp_ieee_inexact 0
		.amdhsa_exception_int_div_zero 0
	.end_amdhsa_kernel
	.section	.text._ZN9rocsolver6v33100L22larf_left_kernel_smallILi1024EdiPKPdEEvT1_S5_T2_lS5_lPKT0_lS6_lS5_l,"axG",@progbits,_ZN9rocsolver6v33100L22larf_left_kernel_smallILi1024EdiPKPdEEvT1_S5_T2_lS5_lPKT0_lS6_lS5_l,comdat
.Lfunc_end14:
	.size	_ZN9rocsolver6v33100L22larf_left_kernel_smallILi1024EdiPKPdEEvT1_S5_T2_lS5_lPKT0_lS6_lS5_l, .Lfunc_end14-_ZN9rocsolver6v33100L22larf_left_kernel_smallILi1024EdiPKPdEEvT1_S5_T2_lS5_lPKT0_lS6_lS5_l
                                        ; -- End function
	.set _ZN9rocsolver6v33100L22larf_left_kernel_smallILi1024EdiPKPdEEvT1_S5_T2_lS5_lPKT0_lS6_lS5_l.num_vgpr, 40
	.set _ZN9rocsolver6v33100L22larf_left_kernel_smallILi1024EdiPKPdEEvT1_S5_T2_lS5_lPKT0_lS6_lS5_l.num_agpr, 0
	.set _ZN9rocsolver6v33100L22larf_left_kernel_smallILi1024EdiPKPdEEvT1_S5_T2_lS5_lPKT0_lS6_lS5_l.numbered_sgpr, 26
	.set _ZN9rocsolver6v33100L22larf_left_kernel_smallILi1024EdiPKPdEEvT1_S5_T2_lS5_lPKT0_lS6_lS5_l.num_named_barrier, 0
	.set _ZN9rocsolver6v33100L22larf_left_kernel_smallILi1024EdiPKPdEEvT1_S5_T2_lS5_lPKT0_lS6_lS5_l.private_seg_size, 0
	.set _ZN9rocsolver6v33100L22larf_left_kernel_smallILi1024EdiPKPdEEvT1_S5_T2_lS5_lPKT0_lS6_lS5_l.uses_vcc, 1
	.set _ZN9rocsolver6v33100L22larf_left_kernel_smallILi1024EdiPKPdEEvT1_S5_T2_lS5_lPKT0_lS6_lS5_l.uses_flat_scratch, 0
	.set _ZN9rocsolver6v33100L22larf_left_kernel_smallILi1024EdiPKPdEEvT1_S5_T2_lS5_lPKT0_lS6_lS5_l.has_dyn_sized_stack, 0
	.set _ZN9rocsolver6v33100L22larf_left_kernel_smallILi1024EdiPKPdEEvT1_S5_T2_lS5_lPKT0_lS6_lS5_l.has_recursion, 0
	.set _ZN9rocsolver6v33100L22larf_left_kernel_smallILi1024EdiPKPdEEvT1_S5_T2_lS5_lPKT0_lS6_lS5_l.has_indirect_call, 0
	.section	.AMDGPU.csdata,"",@progbits
; Kernel info:
; codeLenInByte = 1580
; TotalNumSgprs: 28
; NumVgprs: 40
; ScratchSize: 0
; MemoryBound: 0
; FloatMode: 240
; IeeeMode: 1
; LDSByteSize: 24576 bytes/workgroup (compile time only)
; SGPRBlocks: 0
; VGPRBlocks: 2
; NumSGPRsForWavesPerEU: 28
; NumVGPRsForWavesPerEU: 40
; NamedBarCnt: 0
; Occupancy: 16
; WaveLimiterHint : 1
; COMPUTE_PGM_RSRC2:SCRATCH_EN: 0
; COMPUTE_PGM_RSRC2:USER_SGPR: 2
; COMPUTE_PGM_RSRC2:TRAP_HANDLER: 0
; COMPUTE_PGM_RSRC2:TGID_X_EN: 1
; COMPUTE_PGM_RSRC2:TGID_Y_EN: 1
; COMPUTE_PGM_RSRC2:TGID_Z_EN: 0
; COMPUTE_PGM_RSRC2:TIDIG_COMP_CNT: 0
	.section	.text._ZN9rocsolver6v33100L23larf_right_kernel_smallILi64EdiPKPdEEvT1_S5_T2_lS5_lPKT0_lS6_lS5_l,"axG",@progbits,_ZN9rocsolver6v33100L23larf_right_kernel_smallILi64EdiPKPdEEvT1_S5_T2_lS5_lPKT0_lS6_lS5_l,comdat
	.globl	_ZN9rocsolver6v33100L23larf_right_kernel_smallILi64EdiPKPdEEvT1_S5_T2_lS5_lPKT0_lS6_lS5_l ; -- Begin function _ZN9rocsolver6v33100L23larf_right_kernel_smallILi64EdiPKPdEEvT1_S5_T2_lS5_lPKT0_lS6_lS5_l
	.p2align	8
	.type	_ZN9rocsolver6v33100L23larf_right_kernel_smallILi64EdiPKPdEEvT1_S5_T2_lS5_lPKT0_lS6_lS5_l,@function
_ZN9rocsolver6v33100L23larf_right_kernel_smallILi64EdiPKPdEEvT1_S5_T2_lS5_lPKT0_lS6_lS5_l: ; @_ZN9rocsolver6v33100L23larf_right_kernel_smallILi64EdiPKPdEEvT1_S5_T2_lS5_lPKT0_lS6_lS5_l
; %bb.0:
	s_load_b256 s[4:11], s[0:1], 0x28
	s_bfe_u32 s2, ttmp6, 0x4000c
	s_and_b32 s12, ttmp6, 15
	s_add_co_i32 s2, s2, 1
	s_getreg_b32 s3, hwreg(HW_REG_IB_STS2, 6, 4)
	s_mul_i32 s2, ttmp9, s2
	v_lshlrev_b32_e32 v1, 3, v0
	s_add_co_i32 s12, s12, s2
	s_cmp_eq_u32 s3, 0
	s_mov_b32 s21, 0
	s_cselect_b32 s14, ttmp9, s12
	s_load_b64 s[12:13], s[0:1], 0x0
	s_ashr_i32 s15, s14, 31
	s_delay_alu instid0(SALU_CYCLE_1)
	s_lshl_b64 s[18:19], s[14:15], 3
	s_wait_kmcnt 0x0
	s_add_nc_u64 s[8:9], s[8:9], s[18:19]
	s_load_b64 s[16:17], s[8:9], 0x0
	v_cmp_gt_i32_e64 s2, s13, v0
	s_and_saveexec_b32 s20, s2
	s_cbranch_execz .LBB15_3
; %bb.1:
	s_clause 0x1
	s_load_b128 s[24:27], s[0:1], 0x8
	s_load_b32 s22, s[0:1], 0x18
	s_sub_co_i32 s23, 1, s13
	v_dual_mov_b32 v4, v0 :: v_dual_lshlrev_b32 v3, 3, v0
	s_wait_kmcnt 0x0
	s_add_nc_u64 s[8:9], s[24:25], s[18:19]
	s_lshl_b64 s[18:19], s[26:27], 3
	s_load_b64 s[8:9], s[8:9], 0x0
	s_mul_i32 s23, s22, s23
	s_cmp_lt_i32 s22, 1
	s_cselect_b32 s23, s23, 0
	s_delay_alu instid0(SALU_CYCLE_1)
	v_mad_u32 v2, v0, s22, s23
	s_wait_kmcnt 0x0
	s_add_nc_u64 s[8:9], s[8:9], s[18:19]
	s_lshl_b32 s18, s22, 6
.LBB15_2:                               ; =>This Inner Loop Header: Depth=1
	flat_load_b64 v[6:7], v2, s[8:9] scale_offset
	s_wait_xcnt 0x0
	v_dual_add_nc_u32 v4, 64, v4 :: v_dual_add_nc_u32 v2, s18, v2
	s_delay_alu instid0(VALU_DEP_1)
	v_cmp_le_i32_e32 vcc_lo, s13, v4
	s_or_b32 s21, vcc_lo, s21
	s_wait_loadcnt_dscnt 0x0
	ds_store_b64 v3, v[6:7]
	v_add_nc_u32_e32 v3, 0x200, v3
	s_and_not1_b32 exec_lo, exec_lo, s21
	s_cbranch_execnz .LBB15_2
.LBB15_3:
	s_or_b32 exec_lo, exec_lo, s20
	s_wait_xcnt 0x0
	s_bfe_u32 s8, ttmp6, 0x40010
	s_bfe_u32 s9, ttmp6, 0x40004
	s_add_co_i32 s8, s8, 1
	s_wait_dscnt 0x0
	s_mul_i32 s8, ttmp7, s8
	s_barrier_signal -1
	s_add_co_i32 s9, s9, s8
	s_cmp_eq_u32 s3, 0
	s_barrier_wait -1
	s_cselect_b32 s8, ttmp7, s9
	s_delay_alu instid0(SALU_CYCLE_1)
	s_cmp_ge_i32 s8, s12
	s_cbranch_scc1 .LBB15_23
; %bb.4:
	s_load_b32 s9, s[0:1], 0x48
	v_dual_lshrrev_b32 v10, 2, v0 :: v_dual_bitop2_b32 v2, 31, v0 bitop3:0x40
	v_mbcnt_lo_u32_b32 v9, -1, 0
	s_wait_xcnt 0x0
	s_lshl_b64 s[0:1], s[10:11], 3
	s_mul_u64 s[10:11], s[6:7], s[14:15]
	s_wait_kmcnt 0x0
	s_add_nc_u64 s[6:7], s[16:17], s[0:1]
	s_lshl_b64 s[10:11], s[10:11], 3
	v_cmp_eq_u32_e64 s0, 0, v2
	v_cmp_eq_u32_e64 s1, 0, v0
	v_lshl_or_b32 v11, v9, 2, 64
	v_mov_b32_e32 v12, 0
	s_cmp_gt_i32 s13, 1
	s_add_nc_u64 s[4:5], s[4:5], s[10:11]
	s_cselect_b32 s3, -1, 0
	v_mul_lo_u32 v8, v0, s9
	s_lshl_b32 s14, s9, 6
	s_branch .LBB15_6
.LBB15_5:                               ;   in Loop: Header=BB15_6 Depth=1
	s_or_b32 exec_lo, exec_lo, s9
	s_add_co_i32 s8, s8, 64
	s_delay_alu instid0(SALU_CYCLE_1)
	s_cmp_ge_i32 s8, s12
	s_cbranch_scc1 .LBB15_23
.LBB15_6:                               ; =>This Loop Header: Depth=1
                                        ;     Child Loop BB15_8 Depth 2
                                        ;     Child Loop BB15_22 Depth 2
	v_mov_b64_e32 v[2:3], 0
	s_ashr_i32 s9, s8, 31
	s_delay_alu instid0(SALU_CYCLE_1) | instskip(NEXT) | instid1(SALU_CYCLE_1)
	s_lshl_b64 s[10:11], s[8:9], 3
	s_add_nc_u64 s[10:11], s[6:7], s[10:11]
	s_and_saveexec_b32 s9, s2
	s_cbranch_execz .LBB15_10
; %bb.7:                                ;   in Loop: Header=BB15_6 Depth=1
	v_mov_b64_e32 v[2:3], 0
	s_delay_alu instid0(VALU_DEP_3)
	v_dual_mov_b32 v4, v8 :: v_dual_mov_b32 v5, v1
	v_mov_b32_e32 v6, v0
	s_mov_b32 s15, 0
.LBB15_8:                               ;   Parent Loop BB15_6 Depth=1
                                        ; =>  This Inner Loop Header: Depth=2
	flat_load_b64 v[14:15], v4, s[10:11] scale_offset
	ds_load_b64 v[16:17], v5
	s_wait_xcnt 0x0
	v_dual_add_nc_u32 v6, 64, v6 :: v_dual_add_nc_u32 v4, s14, v4
	v_add_nc_u32_e32 v5, 0x200, v5
	s_delay_alu instid0(VALU_DEP_2)
	v_cmp_le_i32_e32 vcc_lo, s13, v6
	s_or_b32 s15, vcc_lo, s15
	s_wait_loadcnt_dscnt 0x0
	v_fmac_f64_e32 v[2:3], v[16:17], v[14:15]
	s_and_not1_b32 exec_lo, exec_lo, s15
	s_cbranch_execnz .LBB15_8
; %bb.9:                                ;   in Loop: Header=BB15_6 Depth=1
	s_or_b32 exec_lo, exec_lo, s15
.LBB15_10:                              ;   in Loop: Header=BB15_6 Depth=1
	s_delay_alu instid0(SALU_CYCLE_1) | instskip(NEXT) | instid1(SALU_CYCLE_1)
	s_or_b32 exec_lo, exec_lo, s9
	s_and_b32 vcc_lo, exec_lo, s3
	s_cbranch_vccz .LBB15_17
; %bb.11:                               ;   in Loop: Header=BB15_6 Depth=1
	v_cmp_ne_u32_e32 vcc_lo, 31, v9
	v_add_co_ci_u32_e64 v4, null, 0, v9, vcc_lo
	v_cmp_gt_u32_e32 vcc_lo, 30, v9
	s_delay_alu instid0(VALU_DEP_2)
	v_lshlrev_b32_e32 v5, 2, v4
	v_cndmask_b32_e64 v6, 0, 2, vcc_lo
	v_cmp_gt_u32_e32 vcc_lo, 28, v9
	ds_bpermute_b32 v4, v5, v2
	ds_bpermute_b32 v5, v5, v3
	v_add_lshl_u32 v7, v6, v9, 2
	s_wait_dscnt 0x0
	v_add_f64_e32 v[4:5], v[2:3], v[4:5]
	ds_bpermute_b32 v6, v7, v4
	ds_bpermute_b32 v7, v7, v5
	s_wait_dscnt 0x0
	v_add_f64_e32 v[4:5], v[4:5], v[6:7]
	v_cndmask_b32_e64 v6, 0, 4, vcc_lo
	v_cmp_gt_u32_e32 vcc_lo, 24, v9
	s_delay_alu instid0(VALU_DEP_2)
	v_add_lshl_u32 v7, v6, v9, 2
	ds_bpermute_b32 v6, v7, v4
	ds_bpermute_b32 v7, v7, v5
	s_wait_dscnt 0x0
	v_add_f64_e32 v[4:5], v[4:5], v[6:7]
	v_cndmask_b32_e64 v6, 0, 8, vcc_lo
	s_delay_alu instid0(VALU_DEP_1)
	v_add_lshl_u32 v7, v6, v9, 2
	ds_bpermute_b32 v6, v7, v4
	ds_bpermute_b32 v7, v7, v5
	s_wait_dscnt 0x0
	v_add_f64_e32 v[4:5], v[4:5], v[6:7]
	ds_bpermute_b32 v6, v11, v4
	ds_bpermute_b32 v7, v11, v5
	s_wait_dscnt 0x0
	v_add_f64_e32 v[6:7], v[4:5], v[6:7]
	s_and_saveexec_b32 s9, s0
; %bb.12:                               ;   in Loop: Header=BB15_6 Depth=1
	ds_store_b64 v10, v[6:7] offset:16384
; %bb.13:                               ;   in Loop: Header=BB15_6 Depth=1
	s_or_b32 exec_lo, exec_lo, s9
	s_mov_b32 s15, 0
	s_mov_b32 s9, 0
	s_wait_dscnt 0x0
	s_barrier_signal -1
	s_barrier_wait -1
                                        ; implicit-def: $vgpr4_vgpr5
	s_and_saveexec_b32 s16, s1
	s_delay_alu instid0(SALU_CYCLE_1)
	s_xor_b32 s16, exec_lo, s16
	s_cbranch_execz .LBB15_15
; %bb.14:                               ;   in Loop: Header=BB15_6 Depth=1
	ds_load_b64 v[4:5], v12 offset:16392
	s_mov_b32 s9, exec_lo
	s_wait_dscnt 0x0
	v_add_f64_e32 v[4:5], v[6:7], v[4:5]
.LBB15_15:                              ;   in Loop: Header=BB15_6 Depth=1
	s_or_b32 exec_lo, exec_lo, s16
	s_delay_alu instid0(SALU_CYCLE_1)
	s_and_b32 vcc_lo, exec_lo, s15
	s_cbranch_vccnz .LBB15_18
.LBB15_16:                              ;   in Loop: Header=BB15_6 Depth=1
	s_delay_alu instid0(VALU_DEP_1)
	v_mov_b64_e32 v[2:3], v[4:5]
	s_and_saveexec_b32 s15, s9
	s_cbranch_execnz .LBB15_19
	s_branch .LBB15_20
.LBB15_17:                              ;   in Loop: Header=BB15_6 Depth=1
	s_mov_b32 s9, 0
                                        ; implicit-def: $vgpr4_vgpr5
	s_cbranch_execz .LBB15_16
.LBB15_18:                              ;   in Loop: Header=BB15_6 Depth=1
	s_and_not1_b32 s9, s9, exec_lo
	s_and_b32 s15, s1, exec_lo
	s_delay_alu instid0(SALU_CYCLE_1) | instskip(NEXT) | instid1(SALU_CYCLE_1)
	s_or_b32 s9, s9, s15
	s_and_saveexec_b32 s15, s9
.LBB15_19:                              ;   in Loop: Header=BB15_6 Depth=1
	ds_store_b64 v12, v[2:3] offset:16384
.LBB15_20:                              ;   in Loop: Header=BB15_6 Depth=1
	s_or_b32 exec_lo, exec_lo, s15
	s_wait_dscnt 0x0
	s_barrier_signal -1
	s_barrier_wait -1
	s_and_saveexec_b32 s9, s2
	s_cbranch_execz .LBB15_5
; %bb.21:                               ;   in Loop: Header=BB15_6 Depth=1
	global_load_b64 v[2:3], v12, s[4:5]
	ds_load_b64 v[4:5], v12 offset:16384
	v_mov_b32_e32 v6, v0
	s_mov_b32 s15, 0
	s_wait_loadcnt_dscnt 0x0
	v_mul_f64_e64 v[2:3], v[4:5], -v[2:3]
	v_dual_mov_b32 v4, v1 :: v_dual_mov_b32 v5, v8
.LBB15_22:                              ;   Parent Loop BB15_6 Depth=1
                                        ; =>  This Inner Loop Header: Depth=2
	flat_load_b64 v[14:15], v5, s[10:11] scale_offset
	ds_load_b64 v[16:17], v4
	v_add_nc_u32_e32 v6, 64, v6
	v_add_nc_u32_e32 v4, 0x200, v4
	s_wait_loadcnt_dscnt 0x0
	v_fmac_f64_e32 v[14:15], v[2:3], v[16:17]
	flat_store_b64 v5, v[14:15], s[10:11] scale_offset
	s_wait_xcnt 0x0
	v_add_nc_u32_e32 v5, s14, v5
	v_cmp_le_i32_e32 vcc_lo, s13, v6
	s_or_b32 s15, vcc_lo, s15
	s_delay_alu instid0(SALU_CYCLE_1)
	s_and_not1_b32 exec_lo, exec_lo, s15
	s_cbranch_execnz .LBB15_22
	s_branch .LBB15_5
.LBB15_23:
	s_endpgm
	.section	.rodata,"a",@progbits
	.p2align	6, 0x0
	.amdhsa_kernel _ZN9rocsolver6v33100L23larf_right_kernel_smallILi64EdiPKPdEEvT1_S5_T2_lS5_lPKT0_lS6_lS5_l
		.amdhsa_group_segment_fixed_size 16400
		.amdhsa_private_segment_fixed_size 0
		.amdhsa_kernarg_size 88
		.amdhsa_user_sgpr_count 2
		.amdhsa_user_sgpr_dispatch_ptr 0
		.amdhsa_user_sgpr_queue_ptr 0
		.amdhsa_user_sgpr_kernarg_segment_ptr 1
		.amdhsa_user_sgpr_dispatch_id 0
		.amdhsa_user_sgpr_kernarg_preload_length 0
		.amdhsa_user_sgpr_kernarg_preload_offset 0
		.amdhsa_user_sgpr_private_segment_size 0
		.amdhsa_wavefront_size32 1
		.amdhsa_uses_dynamic_stack 0
		.amdhsa_enable_private_segment 0
		.amdhsa_system_sgpr_workgroup_id_x 1
		.amdhsa_system_sgpr_workgroup_id_y 1
		.amdhsa_system_sgpr_workgroup_id_z 0
		.amdhsa_system_sgpr_workgroup_info 0
		.amdhsa_system_vgpr_workitem_id 0
		.amdhsa_next_free_vgpr 113
		.amdhsa_next_free_sgpr 28
		.amdhsa_named_barrier_count 0
		.amdhsa_reserve_vcc 1
		.amdhsa_float_round_mode_32 0
		.amdhsa_float_round_mode_16_64 0
		.amdhsa_float_denorm_mode_32 3
		.amdhsa_float_denorm_mode_16_64 3
		.amdhsa_fp16_overflow 0
		.amdhsa_memory_ordered 1
		.amdhsa_forward_progress 1
		.amdhsa_inst_pref_size 9
		.amdhsa_round_robin_scheduling 0
		.amdhsa_exception_fp_ieee_invalid_op 0
		.amdhsa_exception_fp_denorm_src 0
		.amdhsa_exception_fp_ieee_div_zero 0
		.amdhsa_exception_fp_ieee_overflow 0
		.amdhsa_exception_fp_ieee_underflow 0
		.amdhsa_exception_fp_ieee_inexact 0
		.amdhsa_exception_int_div_zero 0
	.end_amdhsa_kernel
	.section	.text._ZN9rocsolver6v33100L23larf_right_kernel_smallILi64EdiPKPdEEvT1_S5_T2_lS5_lPKT0_lS6_lS5_l,"axG",@progbits,_ZN9rocsolver6v33100L23larf_right_kernel_smallILi64EdiPKPdEEvT1_S5_T2_lS5_lPKT0_lS6_lS5_l,comdat
.Lfunc_end15:
	.size	_ZN9rocsolver6v33100L23larf_right_kernel_smallILi64EdiPKPdEEvT1_S5_T2_lS5_lPKT0_lS6_lS5_l, .Lfunc_end15-_ZN9rocsolver6v33100L23larf_right_kernel_smallILi64EdiPKPdEEvT1_S5_T2_lS5_lPKT0_lS6_lS5_l
                                        ; -- End function
	.set _ZN9rocsolver6v33100L23larf_right_kernel_smallILi64EdiPKPdEEvT1_S5_T2_lS5_lPKT0_lS6_lS5_l.num_vgpr, 18
	.set _ZN9rocsolver6v33100L23larf_right_kernel_smallILi64EdiPKPdEEvT1_S5_T2_lS5_lPKT0_lS6_lS5_l.num_agpr, 0
	.set _ZN9rocsolver6v33100L23larf_right_kernel_smallILi64EdiPKPdEEvT1_S5_T2_lS5_lPKT0_lS6_lS5_l.numbered_sgpr, 28
	.set _ZN9rocsolver6v33100L23larf_right_kernel_smallILi64EdiPKPdEEvT1_S5_T2_lS5_lPKT0_lS6_lS5_l.num_named_barrier, 0
	.set _ZN9rocsolver6v33100L23larf_right_kernel_smallILi64EdiPKPdEEvT1_S5_T2_lS5_lPKT0_lS6_lS5_l.private_seg_size, 0
	.set _ZN9rocsolver6v33100L23larf_right_kernel_smallILi64EdiPKPdEEvT1_S5_T2_lS5_lPKT0_lS6_lS5_l.uses_vcc, 1
	.set _ZN9rocsolver6v33100L23larf_right_kernel_smallILi64EdiPKPdEEvT1_S5_T2_lS5_lPKT0_lS6_lS5_l.uses_flat_scratch, 0
	.set _ZN9rocsolver6v33100L23larf_right_kernel_smallILi64EdiPKPdEEvT1_S5_T2_lS5_lPKT0_lS6_lS5_l.has_dyn_sized_stack, 0
	.set _ZN9rocsolver6v33100L23larf_right_kernel_smallILi64EdiPKPdEEvT1_S5_T2_lS5_lPKT0_lS6_lS5_l.has_recursion, 0
	.set _ZN9rocsolver6v33100L23larf_right_kernel_smallILi64EdiPKPdEEvT1_S5_T2_lS5_lPKT0_lS6_lS5_l.has_indirect_call, 0
	.section	.AMDGPU.csdata,"",@progbits
; Kernel info:
; codeLenInByte = 1112
; TotalNumSgprs: 30
; NumVgprs: 18
; ScratchSize: 0
; MemoryBound: 0
; FloatMode: 240
; IeeeMode: 1
; LDSByteSize: 16400 bytes/workgroup (compile time only)
; SGPRBlocks: 0
; VGPRBlocks: 7
; NumSGPRsForWavesPerEU: 30
; NumVGPRsForWavesPerEU: 113
; NamedBarCnt: 0
; Occupancy: 8
; WaveLimiterHint : 1
; COMPUTE_PGM_RSRC2:SCRATCH_EN: 0
; COMPUTE_PGM_RSRC2:USER_SGPR: 2
; COMPUTE_PGM_RSRC2:TRAP_HANDLER: 0
; COMPUTE_PGM_RSRC2:TGID_X_EN: 1
; COMPUTE_PGM_RSRC2:TGID_Y_EN: 1
; COMPUTE_PGM_RSRC2:TGID_Z_EN: 0
; COMPUTE_PGM_RSRC2:TIDIG_COMP_CNT: 0
	.section	.text._ZN9rocsolver6v33100L23larf_right_kernel_smallILi128EdiPKPdEEvT1_S5_T2_lS5_lPKT0_lS6_lS5_l,"axG",@progbits,_ZN9rocsolver6v33100L23larf_right_kernel_smallILi128EdiPKPdEEvT1_S5_T2_lS5_lPKT0_lS6_lS5_l,comdat
	.globl	_ZN9rocsolver6v33100L23larf_right_kernel_smallILi128EdiPKPdEEvT1_S5_T2_lS5_lPKT0_lS6_lS5_l ; -- Begin function _ZN9rocsolver6v33100L23larf_right_kernel_smallILi128EdiPKPdEEvT1_S5_T2_lS5_lPKT0_lS6_lS5_l
	.p2align	8
	.type	_ZN9rocsolver6v33100L23larf_right_kernel_smallILi128EdiPKPdEEvT1_S5_T2_lS5_lPKT0_lS6_lS5_l,@function
_ZN9rocsolver6v33100L23larf_right_kernel_smallILi128EdiPKPdEEvT1_S5_T2_lS5_lPKT0_lS6_lS5_l: ; @_ZN9rocsolver6v33100L23larf_right_kernel_smallILi128EdiPKPdEEvT1_S5_T2_lS5_lPKT0_lS6_lS5_l
; %bb.0:
	s_load_b256 s[4:11], s[0:1], 0x28
	s_bfe_u32 s2, ttmp6, 0x4000c
	s_and_b32 s12, ttmp6, 15
	s_add_co_i32 s2, s2, 1
	s_getreg_b32 s3, hwreg(HW_REG_IB_STS2, 6, 4)
	s_mul_i32 s2, ttmp9, s2
	v_lshlrev_b32_e32 v1, 3, v0
	s_add_co_i32 s12, s12, s2
	s_cmp_eq_u32 s3, 0
	s_mov_b32 s21, 0
	s_cselect_b32 s14, ttmp9, s12
	s_load_b64 s[12:13], s[0:1], 0x0
	s_ashr_i32 s15, s14, 31
	s_delay_alu instid0(SALU_CYCLE_1)
	s_lshl_b64 s[18:19], s[14:15], 3
	s_wait_kmcnt 0x0
	s_add_nc_u64 s[8:9], s[8:9], s[18:19]
	s_load_b64 s[16:17], s[8:9], 0x0
	v_cmp_gt_i32_e64 s2, s13, v0
	s_and_saveexec_b32 s20, s2
	s_cbranch_execz .LBB16_3
; %bb.1:
	s_clause 0x1
	s_load_b128 s[24:27], s[0:1], 0x8
	s_load_b32 s22, s[0:1], 0x18
	s_sub_co_i32 s23, 1, s13
	v_dual_mov_b32 v4, v0 :: v_dual_lshlrev_b32 v3, 3, v0
	s_wait_kmcnt 0x0
	s_add_nc_u64 s[8:9], s[24:25], s[18:19]
	s_lshl_b64 s[18:19], s[26:27], 3
	s_load_b64 s[8:9], s[8:9], 0x0
	s_mul_i32 s23, s22, s23
	s_cmp_lt_i32 s22, 1
	s_cselect_b32 s23, s23, 0
	s_delay_alu instid0(SALU_CYCLE_1)
	v_mad_u32 v2, v0, s22, s23
	s_wait_kmcnt 0x0
	s_add_nc_u64 s[8:9], s[8:9], s[18:19]
	s_lshl_b32 s18, s22, 7
.LBB16_2:                               ; =>This Inner Loop Header: Depth=1
	flat_load_b64 v[6:7], v2, s[8:9] scale_offset
	v_add_nc_u32_e32 v4, 0x80, v4
	s_wait_xcnt 0x0
	v_add_nc_u32_e32 v2, s18, v2
	s_delay_alu instid0(VALU_DEP_2)
	v_cmp_le_i32_e32 vcc_lo, s13, v4
	s_or_b32 s21, vcc_lo, s21
	s_wait_loadcnt_dscnt 0x0
	ds_store_b64 v3, v[6:7]
	v_add_nc_u32_e32 v3, 0x400, v3
	s_and_not1_b32 exec_lo, exec_lo, s21
	s_cbranch_execnz .LBB16_2
.LBB16_3:
	s_or_b32 exec_lo, exec_lo, s20
	s_wait_xcnt 0x0
	s_bfe_u32 s8, ttmp6, 0x40010
	s_bfe_u32 s9, ttmp6, 0x40004
	s_add_co_i32 s8, s8, 1
	s_wait_dscnt 0x0
	s_mul_i32 s8, ttmp7, s8
	s_barrier_signal -1
	s_add_co_i32 s9, s9, s8
	s_cmp_eq_u32 s3, 0
	s_barrier_wait -1
	s_cselect_b32 s8, ttmp7, s9
	s_delay_alu instid0(SALU_CYCLE_1)
	s_cmp_ge_i32 s8, s12
	s_cbranch_scc1 .LBB16_23
; %bb.4:
	s_load_b32 s9, s[0:1], 0x48
	v_dual_lshrrev_b32 v10, 2, v0 :: v_dual_bitop2_b32 v2, 31, v0 bitop3:0x40
	v_mbcnt_lo_u32_b32 v8, -1, 0
	s_wait_xcnt 0x0
	s_lshl_b64 s[0:1], s[10:11], 3
	v_dual_mov_b32 v12, 0x4008 :: v_dual_mov_b32 v13, 0
	s_wait_kmcnt 0x0
	s_add_nc_u64 s[10:11], s[16:17], s[0:1]
	s_mul_u64 s[0:1], s[6:7], s[14:15]
	v_lshl_or_b32 v11, v8, 2, 64
	s_lshl_b64 s[6:7], s[0:1], 3
	v_cmp_eq_u32_e64 s0, 0, v2
	v_cmp_eq_u32_e64 s1, 0, v0
	s_cmp_gt_i32 s13, 1
	s_add_nc_u64 s[4:5], s[4:5], s[6:7]
	s_cselect_b32 s3, -1, 0
	v_mul_lo_u32 v9, v0, s9
	s_lshl_b32 s14, s9, 7
	s_branch .LBB16_6
.LBB16_5:                               ;   in Loop: Header=BB16_6 Depth=1
	s_or_b32 exec_lo, exec_lo, s9
	s_add_co_i32 s8, s8, 64
	s_delay_alu instid0(SALU_CYCLE_1)
	s_cmp_ge_i32 s8, s12
	s_cbranch_scc1 .LBB16_23
.LBB16_6:                               ; =>This Loop Header: Depth=1
                                        ;     Child Loop BB16_8 Depth 2
                                        ;     Child Loop BB16_22 Depth 2
	v_mov_b64_e32 v[2:3], 0
	s_ashr_i32 s9, s8, 31
	s_delay_alu instid0(SALU_CYCLE_1) | instskip(NEXT) | instid1(SALU_CYCLE_1)
	s_lshl_b64 s[6:7], s[8:9], 3
	s_add_nc_u64 s[6:7], s[10:11], s[6:7]
	s_and_saveexec_b32 s9, s2
	s_cbranch_execz .LBB16_10
; %bb.7:                                ;   in Loop: Header=BB16_6 Depth=1
	v_mov_b64_e32 v[2:3], 0
	s_delay_alu instid0(VALU_DEP_3)
	v_dual_mov_b32 v4, v9 :: v_dual_mov_b32 v5, v1
	v_mov_b32_e32 v6, v0
	s_mov_b32 s15, 0
.LBB16_8:                               ;   Parent Loop BB16_6 Depth=1
                                        ; =>  This Inner Loop Header: Depth=2
	flat_load_b64 v[14:15], v4, s[6:7] scale_offset
	ds_load_b64 v[16:17], v5
	v_add_nc_u32_e32 v6, 0x80, v6
	v_add_nc_u32_e32 v5, 0x400, v5
	s_wait_xcnt 0x0
	v_add_nc_u32_e32 v4, s14, v4
	s_delay_alu instid0(VALU_DEP_3)
	v_cmp_le_i32_e32 vcc_lo, s13, v6
	s_or_b32 s15, vcc_lo, s15
	s_wait_loadcnt_dscnt 0x0
	v_fmac_f64_e32 v[2:3], v[16:17], v[14:15]
	s_and_not1_b32 exec_lo, exec_lo, s15
	s_cbranch_execnz .LBB16_8
; %bb.9:                                ;   in Loop: Header=BB16_6 Depth=1
	s_or_b32 exec_lo, exec_lo, s15
.LBB16_10:                              ;   in Loop: Header=BB16_6 Depth=1
	s_delay_alu instid0(SALU_CYCLE_1) | instskip(NEXT) | instid1(SALU_CYCLE_1)
	s_or_b32 exec_lo, exec_lo, s9
	s_and_b32 vcc_lo, exec_lo, s3
	s_cbranch_vccz .LBB16_17
; %bb.11:                               ;   in Loop: Header=BB16_6 Depth=1
	v_cmp_ne_u32_e32 vcc_lo, 31, v8
	v_add_co_ci_u32_e64 v4, null, 0, v8, vcc_lo
	v_cmp_gt_u32_e32 vcc_lo, 30, v8
	s_delay_alu instid0(VALU_DEP_2)
	v_lshlrev_b32_e32 v5, 2, v4
	v_cndmask_b32_e64 v6, 0, 2, vcc_lo
	v_cmp_gt_u32_e32 vcc_lo, 28, v8
	ds_bpermute_b32 v4, v5, v2
	ds_bpermute_b32 v5, v5, v3
	v_add_lshl_u32 v7, v6, v8, 2
	s_wait_dscnt 0x0
	v_add_f64_e32 v[4:5], v[2:3], v[4:5]
	ds_bpermute_b32 v6, v7, v4
	ds_bpermute_b32 v7, v7, v5
	s_wait_dscnt 0x0
	v_add_f64_e32 v[4:5], v[4:5], v[6:7]
	v_cndmask_b32_e64 v6, 0, 4, vcc_lo
	v_cmp_gt_u32_e32 vcc_lo, 24, v8
	s_delay_alu instid0(VALU_DEP_2)
	v_add_lshl_u32 v7, v6, v8, 2
	ds_bpermute_b32 v6, v7, v4
	ds_bpermute_b32 v7, v7, v5
	s_wait_dscnt 0x0
	v_add_f64_e32 v[4:5], v[4:5], v[6:7]
	v_cndmask_b32_e64 v6, 0, 8, vcc_lo
	s_delay_alu instid0(VALU_DEP_1)
	v_add_lshl_u32 v7, v6, v8, 2
	ds_bpermute_b32 v6, v7, v4
	ds_bpermute_b32 v7, v7, v5
	s_wait_dscnt 0x0
	v_add_f64_e32 v[4:5], v[4:5], v[6:7]
	ds_bpermute_b32 v6, v11, v4
	ds_bpermute_b32 v7, v11, v5
	s_wait_dscnt 0x0
	v_add_f64_e32 v[4:5], v[4:5], v[6:7]
	s_and_saveexec_b32 s9, s0
; %bb.12:                               ;   in Loop: Header=BB16_6 Depth=1
	ds_store_b64 v10, v[4:5] offset:16384
; %bb.13:                               ;   in Loop: Header=BB16_6 Depth=1
	s_or_b32 exec_lo, exec_lo, s9
	s_mov_b32 s15, 0
	s_mov_b32 s9, 0
	s_wait_dscnt 0x0
	s_barrier_signal -1
	s_barrier_wait -1
                                        ; implicit-def: $vgpr6_vgpr7
	s_and_saveexec_b32 s16, s1
	s_delay_alu instid0(SALU_CYCLE_1)
	s_xor_b32 s16, exec_lo, s16
	s_cbranch_execz .LBB16_15
; %bb.14:                               ;   in Loop: Header=BB16_6 Depth=1
	ds_load_2addr_b64 v[14:17], v12 offset1:1
	ds_load_b64 v[6:7], v13 offset:16408
	s_mov_b32 s9, exec_lo
	s_wait_dscnt 0x1
	v_add_f64_e32 v[4:5], v[4:5], v[14:15]
	s_delay_alu instid0(VALU_DEP_1) | instskip(SKIP_1) | instid1(VALU_DEP_1)
	v_add_f64_e32 v[4:5], v[4:5], v[16:17]
	s_wait_dscnt 0x0
	v_add_f64_e32 v[6:7], v[4:5], v[6:7]
.LBB16_15:                              ;   in Loop: Header=BB16_6 Depth=1
	s_or_b32 exec_lo, exec_lo, s16
	s_delay_alu instid0(SALU_CYCLE_1)
	s_and_b32 vcc_lo, exec_lo, s15
	s_cbranch_vccnz .LBB16_18
.LBB16_16:                              ;   in Loop: Header=BB16_6 Depth=1
	s_delay_alu instid0(VALU_DEP_1)
	v_mov_b64_e32 v[2:3], v[6:7]
	s_and_saveexec_b32 s15, s9
	s_cbranch_execnz .LBB16_19
	s_branch .LBB16_20
.LBB16_17:                              ;   in Loop: Header=BB16_6 Depth=1
	s_mov_b32 s9, 0
                                        ; implicit-def: $vgpr6_vgpr7
	s_cbranch_execz .LBB16_16
.LBB16_18:                              ;   in Loop: Header=BB16_6 Depth=1
	s_and_not1_b32 s9, s9, exec_lo
	s_and_b32 s15, s1, exec_lo
	s_delay_alu instid0(SALU_CYCLE_1) | instskip(NEXT) | instid1(SALU_CYCLE_1)
	s_or_b32 s9, s9, s15
	s_and_saveexec_b32 s15, s9
.LBB16_19:                              ;   in Loop: Header=BB16_6 Depth=1
	ds_store_b64 v13, v[2:3] offset:16384
.LBB16_20:                              ;   in Loop: Header=BB16_6 Depth=1
	s_or_b32 exec_lo, exec_lo, s15
	s_wait_dscnt 0x0
	s_barrier_signal -1
	s_barrier_wait -1
	s_and_saveexec_b32 s9, s2
	s_cbranch_execz .LBB16_5
; %bb.21:                               ;   in Loop: Header=BB16_6 Depth=1
	global_load_b64 v[2:3], v13, s[4:5]
	ds_load_b64 v[4:5], v13 offset:16384
	v_mov_b32_e32 v6, v0
	s_mov_b32 s15, 0
	s_wait_loadcnt_dscnt 0x0
	v_mul_f64_e64 v[2:3], v[4:5], -v[2:3]
	v_dual_mov_b32 v4, v1 :: v_dual_mov_b32 v5, v9
.LBB16_22:                              ;   Parent Loop BB16_6 Depth=1
                                        ; =>  This Inner Loop Header: Depth=2
	flat_load_b64 v[14:15], v5, s[6:7] scale_offset
	ds_load_b64 v[16:17], v4
	v_add_nc_u32_e32 v6, 0x80, v6
	v_add_nc_u32_e32 v4, 0x400, v4
	s_delay_alu instid0(VALU_DEP_2)
	v_cmp_le_i32_e32 vcc_lo, s13, v6
	s_or_b32 s15, vcc_lo, s15
	s_wait_loadcnt_dscnt 0x0
	v_fmac_f64_e32 v[14:15], v[2:3], v[16:17]
	flat_store_b64 v5, v[14:15], s[6:7] scale_offset
	s_wait_xcnt 0x0
	v_add_nc_u32_e32 v5, s14, v5
	s_and_not1_b32 exec_lo, exec_lo, s15
	s_cbranch_execnz .LBB16_22
	s_branch .LBB16_5
.LBB16_23:
	s_endpgm
	.section	.rodata,"a",@progbits
	.p2align	6, 0x0
	.amdhsa_kernel _ZN9rocsolver6v33100L23larf_right_kernel_smallILi128EdiPKPdEEvT1_S5_T2_lS5_lPKT0_lS6_lS5_l
		.amdhsa_group_segment_fixed_size 16416
		.amdhsa_private_segment_fixed_size 0
		.amdhsa_kernarg_size 88
		.amdhsa_user_sgpr_count 2
		.amdhsa_user_sgpr_dispatch_ptr 0
		.amdhsa_user_sgpr_queue_ptr 0
		.amdhsa_user_sgpr_kernarg_segment_ptr 1
		.amdhsa_user_sgpr_dispatch_id 0
		.amdhsa_user_sgpr_kernarg_preload_length 0
		.amdhsa_user_sgpr_kernarg_preload_offset 0
		.amdhsa_user_sgpr_private_segment_size 0
		.amdhsa_wavefront_size32 1
		.amdhsa_uses_dynamic_stack 0
		.amdhsa_enable_private_segment 0
		.amdhsa_system_sgpr_workgroup_id_x 1
		.amdhsa_system_sgpr_workgroup_id_y 1
		.amdhsa_system_sgpr_workgroup_id_z 0
		.amdhsa_system_sgpr_workgroup_info 0
		.amdhsa_system_vgpr_workitem_id 0
		.amdhsa_next_free_vgpr 18
		.amdhsa_next_free_sgpr 28
		.amdhsa_named_barrier_count 0
		.amdhsa_reserve_vcc 1
		.amdhsa_float_round_mode_32 0
		.amdhsa_float_round_mode_16_64 0
		.amdhsa_float_denorm_mode_32 3
		.amdhsa_float_denorm_mode_16_64 3
		.amdhsa_fp16_overflow 0
		.amdhsa_memory_ordered 1
		.amdhsa_forward_progress 1
		.amdhsa_inst_pref_size 9
		.amdhsa_round_robin_scheduling 0
		.amdhsa_exception_fp_ieee_invalid_op 0
		.amdhsa_exception_fp_denorm_src 0
		.amdhsa_exception_fp_ieee_div_zero 0
		.amdhsa_exception_fp_ieee_overflow 0
		.amdhsa_exception_fp_ieee_underflow 0
		.amdhsa_exception_fp_ieee_inexact 0
		.amdhsa_exception_int_div_zero 0
	.end_amdhsa_kernel
	.section	.text._ZN9rocsolver6v33100L23larf_right_kernel_smallILi128EdiPKPdEEvT1_S5_T2_lS5_lPKT0_lS6_lS5_l,"axG",@progbits,_ZN9rocsolver6v33100L23larf_right_kernel_smallILi128EdiPKPdEEvT1_S5_T2_lS5_lPKT0_lS6_lS5_l,comdat
.Lfunc_end16:
	.size	_ZN9rocsolver6v33100L23larf_right_kernel_smallILi128EdiPKPdEEvT1_S5_T2_lS5_lPKT0_lS6_lS5_l, .Lfunc_end16-_ZN9rocsolver6v33100L23larf_right_kernel_smallILi128EdiPKPdEEvT1_S5_T2_lS5_lPKT0_lS6_lS5_l
                                        ; -- End function
	.set _ZN9rocsolver6v33100L23larf_right_kernel_smallILi128EdiPKPdEEvT1_S5_T2_lS5_lPKT0_lS6_lS5_l.num_vgpr, 18
	.set _ZN9rocsolver6v33100L23larf_right_kernel_smallILi128EdiPKPdEEvT1_S5_T2_lS5_lPKT0_lS6_lS5_l.num_agpr, 0
	.set _ZN9rocsolver6v33100L23larf_right_kernel_smallILi128EdiPKPdEEvT1_S5_T2_lS5_lPKT0_lS6_lS5_l.numbered_sgpr, 28
	.set _ZN9rocsolver6v33100L23larf_right_kernel_smallILi128EdiPKPdEEvT1_S5_T2_lS5_lPKT0_lS6_lS5_l.num_named_barrier, 0
	.set _ZN9rocsolver6v33100L23larf_right_kernel_smallILi128EdiPKPdEEvT1_S5_T2_lS5_lPKT0_lS6_lS5_l.private_seg_size, 0
	.set _ZN9rocsolver6v33100L23larf_right_kernel_smallILi128EdiPKPdEEvT1_S5_T2_lS5_lPKT0_lS6_lS5_l.uses_vcc, 1
	.set _ZN9rocsolver6v33100L23larf_right_kernel_smallILi128EdiPKPdEEvT1_S5_T2_lS5_lPKT0_lS6_lS5_l.uses_flat_scratch, 0
	.set _ZN9rocsolver6v33100L23larf_right_kernel_smallILi128EdiPKPdEEvT1_S5_T2_lS5_lPKT0_lS6_lS5_l.has_dyn_sized_stack, 0
	.set _ZN9rocsolver6v33100L23larf_right_kernel_smallILi128EdiPKPdEEvT1_S5_T2_lS5_lPKT0_lS6_lS5_l.has_recursion, 0
	.set _ZN9rocsolver6v33100L23larf_right_kernel_smallILi128EdiPKPdEEvT1_S5_T2_lS5_lPKT0_lS6_lS5_l.has_indirect_call, 0
	.section	.AMDGPU.csdata,"",@progbits
; Kernel info:
; codeLenInByte = 1148
; TotalNumSgprs: 30
; NumVgprs: 18
; ScratchSize: 0
; MemoryBound: 0
; FloatMode: 240
; IeeeMode: 1
; LDSByteSize: 16416 bytes/workgroup (compile time only)
; SGPRBlocks: 0
; VGPRBlocks: 1
; NumSGPRsForWavesPerEU: 30
; NumVGPRsForWavesPerEU: 18
; NamedBarCnt: 0
; Occupancy: 16
; WaveLimiterHint : 1
; COMPUTE_PGM_RSRC2:SCRATCH_EN: 0
; COMPUTE_PGM_RSRC2:USER_SGPR: 2
; COMPUTE_PGM_RSRC2:TRAP_HANDLER: 0
; COMPUTE_PGM_RSRC2:TGID_X_EN: 1
; COMPUTE_PGM_RSRC2:TGID_Y_EN: 1
; COMPUTE_PGM_RSRC2:TGID_Z_EN: 0
; COMPUTE_PGM_RSRC2:TIDIG_COMP_CNT: 0
	.section	.text._ZN9rocsolver6v33100L23larf_right_kernel_smallILi256EdiPKPdEEvT1_S5_T2_lS5_lPKT0_lS6_lS5_l,"axG",@progbits,_ZN9rocsolver6v33100L23larf_right_kernel_smallILi256EdiPKPdEEvT1_S5_T2_lS5_lPKT0_lS6_lS5_l,comdat
	.globl	_ZN9rocsolver6v33100L23larf_right_kernel_smallILi256EdiPKPdEEvT1_S5_T2_lS5_lPKT0_lS6_lS5_l ; -- Begin function _ZN9rocsolver6v33100L23larf_right_kernel_smallILi256EdiPKPdEEvT1_S5_T2_lS5_lPKT0_lS6_lS5_l
	.p2align	8
	.type	_ZN9rocsolver6v33100L23larf_right_kernel_smallILi256EdiPKPdEEvT1_S5_T2_lS5_lPKT0_lS6_lS5_l,@function
_ZN9rocsolver6v33100L23larf_right_kernel_smallILi256EdiPKPdEEvT1_S5_T2_lS5_lPKT0_lS6_lS5_l: ; @_ZN9rocsolver6v33100L23larf_right_kernel_smallILi256EdiPKPdEEvT1_S5_T2_lS5_lPKT0_lS6_lS5_l
; %bb.0:
	s_load_b256 s[4:11], s[0:1], 0x28
	s_bfe_u32 s2, ttmp6, 0x4000c
	s_and_b32 s12, ttmp6, 15
	s_add_co_i32 s2, s2, 1
	s_getreg_b32 s3, hwreg(HW_REG_IB_STS2, 6, 4)
	s_mul_i32 s2, ttmp9, s2
	v_lshlrev_b32_e32 v1, 3, v0
	s_add_co_i32 s12, s12, s2
	s_cmp_eq_u32 s3, 0
	s_mov_b32 s21, 0
	s_cselect_b32 s14, ttmp9, s12
	s_load_b64 s[12:13], s[0:1], 0x0
	s_ashr_i32 s15, s14, 31
	s_delay_alu instid0(SALU_CYCLE_1)
	s_lshl_b64 s[18:19], s[14:15], 3
	s_wait_kmcnt 0x0
	s_add_nc_u64 s[8:9], s[8:9], s[18:19]
	s_load_b64 s[16:17], s[8:9], 0x0
	v_cmp_gt_i32_e64 s2, s13, v0
	s_and_saveexec_b32 s20, s2
	s_cbranch_execz .LBB17_3
; %bb.1:
	s_clause 0x1
	s_load_b128 s[24:27], s[0:1], 0x8
	s_load_b32 s22, s[0:1], 0x18
	s_sub_co_i32 s23, 1, s13
	v_dual_mov_b32 v4, v0 :: v_dual_lshlrev_b32 v3, 3, v0
	s_wait_kmcnt 0x0
	s_add_nc_u64 s[8:9], s[24:25], s[18:19]
	s_lshl_b64 s[18:19], s[26:27], 3
	s_load_b64 s[8:9], s[8:9], 0x0
	s_mul_i32 s23, s22, s23
	s_cmp_lt_i32 s22, 1
	s_cselect_b32 s23, s23, 0
	s_delay_alu instid0(SALU_CYCLE_1)
	v_mad_u32 v2, v0, s22, s23
	s_wait_kmcnt 0x0
	s_add_nc_u64 s[8:9], s[8:9], s[18:19]
	s_lshl_b32 s18, s22, 8
.LBB17_2:                               ; =>This Inner Loop Header: Depth=1
	flat_load_b64 v[6:7], v2, s[8:9] scale_offset
	v_add_nc_u32_e32 v4, 0x100, v4
	s_wait_xcnt 0x0
	v_add_nc_u32_e32 v2, s18, v2
	s_delay_alu instid0(VALU_DEP_2)
	v_cmp_le_i32_e32 vcc_lo, s13, v4
	s_or_b32 s21, vcc_lo, s21
	s_wait_loadcnt_dscnt 0x0
	ds_store_b64 v3, v[6:7]
	v_add_nc_u32_e32 v3, 0x800, v3
	s_and_not1_b32 exec_lo, exec_lo, s21
	s_cbranch_execnz .LBB17_2
.LBB17_3:
	s_or_b32 exec_lo, exec_lo, s20
	s_wait_xcnt 0x0
	s_bfe_u32 s8, ttmp6, 0x40010
	s_bfe_u32 s9, ttmp6, 0x40004
	s_add_co_i32 s8, s8, 1
	s_wait_dscnt 0x0
	s_mul_i32 s8, ttmp7, s8
	s_barrier_signal -1
	s_add_co_i32 s9, s9, s8
	s_cmp_eq_u32 s3, 0
	s_barrier_wait -1
	s_cselect_b32 s8, ttmp7, s9
	s_delay_alu instid0(SALU_CYCLE_1)
	s_cmp_ge_i32 s8, s12
	s_cbranch_scc1 .LBB17_23
; %bb.4:
	s_load_b32 s9, s[0:1], 0x48
	v_dual_lshrrev_b32 v9, 2, v0 :: v_dual_bitop2_b32 v2, 31, v0 bitop3:0x40
	v_mbcnt_lo_u32_b32 v8, -1, 0
	s_wait_xcnt 0x0
	s_lshl_b64 s[0:1], s[10:11], 3
	s_mul_u64 s[10:11], s[6:7], s[14:15]
	s_wait_kmcnt 0x0
	s_add_nc_u64 s[6:7], s[16:17], s[0:1]
	s_lshl_b64 s[10:11], s[10:11], 3
	v_cmp_eq_u32_e64 s0, 0, v2
	v_cmp_eq_u32_e64 s1, 0, v0
	v_lshl_or_b32 v11, v8, 2, 64
	v_dual_mov_b32 v12, 0x4008 :: v_dual_mov_b32 v15, 0
	v_mov_b32_e32 v13, 0x4018
	v_mov_b32_e32 v14, 0x4028
	s_cmp_gt_i32 s13, 1
	s_add_nc_u64 s[4:5], s[4:5], s[10:11]
	s_cselect_b32 s3, -1, 0
	v_mul_lo_u32 v10, v0, s9
	s_lshl_b32 s14, s9, 8
	s_branch .LBB17_6
.LBB17_5:                               ;   in Loop: Header=BB17_6 Depth=1
	s_or_b32 exec_lo, exec_lo, s9
	s_add_co_i32 s8, s8, 64
	s_delay_alu instid0(SALU_CYCLE_1)
	s_cmp_ge_i32 s8, s12
	s_cbranch_scc1 .LBB17_23
.LBB17_6:                               ; =>This Loop Header: Depth=1
                                        ;     Child Loop BB17_8 Depth 2
                                        ;     Child Loop BB17_22 Depth 2
	v_mov_b64_e32 v[2:3], 0
	s_ashr_i32 s9, s8, 31
	s_delay_alu instid0(SALU_CYCLE_1) | instskip(NEXT) | instid1(SALU_CYCLE_1)
	s_lshl_b64 s[10:11], s[8:9], 3
	s_add_nc_u64 s[10:11], s[6:7], s[10:11]
	s_and_saveexec_b32 s9, s2
	s_cbranch_execz .LBB17_10
; %bb.7:                                ;   in Loop: Header=BB17_6 Depth=1
	v_mov_b64_e32 v[2:3], 0
	s_delay_alu instid0(VALU_DEP_3)
	v_dual_mov_b32 v4, v10 :: v_dual_mov_b32 v5, v1
	v_mov_b32_e32 v6, v0
	s_mov_b32 s15, 0
.LBB17_8:                               ;   Parent Loop BB17_6 Depth=1
                                        ; =>  This Inner Loop Header: Depth=2
	flat_load_b64 v[16:17], v4, s[10:11] scale_offset
	ds_load_b64 v[18:19], v5
	v_add_nc_u32_e32 v6, 0x100, v6
	v_add_nc_u32_e32 v5, 0x800, v5
	s_wait_xcnt 0x0
	v_add_nc_u32_e32 v4, s14, v4
	s_delay_alu instid0(VALU_DEP_3)
	v_cmp_le_i32_e32 vcc_lo, s13, v6
	s_or_b32 s15, vcc_lo, s15
	s_wait_loadcnt_dscnt 0x0
	v_fmac_f64_e32 v[2:3], v[18:19], v[16:17]
	s_and_not1_b32 exec_lo, exec_lo, s15
	s_cbranch_execnz .LBB17_8
; %bb.9:                                ;   in Loop: Header=BB17_6 Depth=1
	s_or_b32 exec_lo, exec_lo, s15
.LBB17_10:                              ;   in Loop: Header=BB17_6 Depth=1
	s_delay_alu instid0(SALU_CYCLE_1) | instskip(NEXT) | instid1(SALU_CYCLE_1)
	s_or_b32 exec_lo, exec_lo, s9
	s_and_b32 vcc_lo, exec_lo, s3
	s_cbranch_vccz .LBB17_17
; %bb.11:                               ;   in Loop: Header=BB17_6 Depth=1
	v_cmp_ne_u32_e32 vcc_lo, 31, v8
	v_add_co_ci_u32_e64 v4, null, 0, v8, vcc_lo
	v_cmp_gt_u32_e32 vcc_lo, 30, v8
	s_delay_alu instid0(VALU_DEP_2)
	v_lshlrev_b32_e32 v5, 2, v4
	v_cndmask_b32_e64 v6, 0, 2, vcc_lo
	v_cmp_gt_u32_e32 vcc_lo, 28, v8
	ds_bpermute_b32 v4, v5, v2
	ds_bpermute_b32 v5, v5, v3
	v_add_lshl_u32 v7, v6, v8, 2
	s_wait_dscnt 0x0
	v_add_f64_e32 v[4:5], v[2:3], v[4:5]
	ds_bpermute_b32 v6, v7, v4
	ds_bpermute_b32 v7, v7, v5
	s_wait_dscnt 0x0
	v_add_f64_e32 v[4:5], v[4:5], v[6:7]
	v_cndmask_b32_e64 v6, 0, 4, vcc_lo
	v_cmp_gt_u32_e32 vcc_lo, 24, v8
	s_delay_alu instid0(VALU_DEP_2)
	v_add_lshl_u32 v7, v6, v8, 2
	ds_bpermute_b32 v6, v7, v4
	ds_bpermute_b32 v7, v7, v5
	s_wait_dscnt 0x0
	v_add_f64_e32 v[4:5], v[4:5], v[6:7]
	v_cndmask_b32_e64 v6, 0, 8, vcc_lo
	s_delay_alu instid0(VALU_DEP_1)
	v_add_lshl_u32 v7, v6, v8, 2
	ds_bpermute_b32 v6, v7, v4
	ds_bpermute_b32 v7, v7, v5
	s_wait_dscnt 0x0
	v_add_f64_e32 v[4:5], v[4:5], v[6:7]
	ds_bpermute_b32 v6, v11, v4
	ds_bpermute_b32 v7, v11, v5
	s_wait_dscnt 0x0
	v_add_f64_e32 v[4:5], v[4:5], v[6:7]
	s_and_saveexec_b32 s9, s0
; %bb.12:                               ;   in Loop: Header=BB17_6 Depth=1
	ds_store_b64 v9, v[4:5] offset:16384
; %bb.13:                               ;   in Loop: Header=BB17_6 Depth=1
	s_or_b32 exec_lo, exec_lo, s9
	s_mov_b32 s15, 0
	s_mov_b32 s9, 0
	s_wait_dscnt 0x0
	s_barrier_signal -1
	s_barrier_wait -1
                                        ; implicit-def: $vgpr6_vgpr7
	s_and_saveexec_b32 s16, s1
	s_delay_alu instid0(SALU_CYCLE_1)
	s_xor_b32 s16, exec_lo, s16
	s_cbranch_execz .LBB17_15
; %bb.14:                               ;   in Loop: Header=BB17_6 Depth=1
	ds_load_2addr_b64 v[16:19], v12 offset1:1
	ds_load_2addr_b64 v[20:23], v13 offset1:1
	s_mov_b32 s9, exec_lo
	s_wait_dscnt 0x1
	v_add_f64_e32 v[4:5], v[4:5], v[16:17]
	s_delay_alu instid0(VALU_DEP_1) | instskip(SKIP_1) | instid1(VALU_DEP_1)
	v_add_f64_e32 v[4:5], v[4:5], v[18:19]
	s_wait_dscnt 0x0
	v_add_f64_e32 v[4:5], v[4:5], v[20:21]
	s_delay_alu instid0(VALU_DEP_1) | instskip(SKIP_4) | instid1(VALU_DEP_1)
	v_add_f64_e32 v[16:17], v[4:5], v[22:23]
	ds_load_2addr_b64 v[4:7], v14 offset1:1
	ds_load_b64 v[18:19], v15 offset:16440
	s_wait_dscnt 0x1
	v_add_f64_e32 v[4:5], v[16:17], v[4:5]
	v_add_f64_e32 v[4:5], v[4:5], v[6:7]
	s_wait_dscnt 0x0
	s_delay_alu instid0(VALU_DEP_1)
	v_add_f64_e32 v[6:7], v[4:5], v[18:19]
.LBB17_15:                              ;   in Loop: Header=BB17_6 Depth=1
	s_or_b32 exec_lo, exec_lo, s16
	s_delay_alu instid0(SALU_CYCLE_1)
	s_and_b32 vcc_lo, exec_lo, s15
	s_cbranch_vccnz .LBB17_18
.LBB17_16:                              ;   in Loop: Header=BB17_6 Depth=1
	s_delay_alu instid0(VALU_DEP_1)
	v_mov_b64_e32 v[2:3], v[6:7]
	s_and_saveexec_b32 s15, s9
	s_cbranch_execnz .LBB17_19
	s_branch .LBB17_20
.LBB17_17:                              ;   in Loop: Header=BB17_6 Depth=1
	s_mov_b32 s9, 0
                                        ; implicit-def: $vgpr6_vgpr7
	s_cbranch_execz .LBB17_16
.LBB17_18:                              ;   in Loop: Header=BB17_6 Depth=1
	s_and_not1_b32 s9, s9, exec_lo
	s_and_b32 s15, s1, exec_lo
	s_delay_alu instid0(SALU_CYCLE_1) | instskip(NEXT) | instid1(SALU_CYCLE_1)
	s_or_b32 s9, s9, s15
	s_and_saveexec_b32 s15, s9
.LBB17_19:                              ;   in Loop: Header=BB17_6 Depth=1
	ds_store_b64 v15, v[2:3] offset:16384
.LBB17_20:                              ;   in Loop: Header=BB17_6 Depth=1
	s_or_b32 exec_lo, exec_lo, s15
	s_wait_dscnt 0x0
	s_barrier_signal -1
	s_barrier_wait -1
	s_and_saveexec_b32 s9, s2
	s_cbranch_execz .LBB17_5
; %bb.21:                               ;   in Loop: Header=BB17_6 Depth=1
	global_load_b64 v[2:3], v15, s[4:5]
	ds_load_b64 v[4:5], v15 offset:16384
	s_mov_b32 s15, 0
	v_mov_b32_e32 v6, v0
	s_wait_loadcnt_dscnt 0x0
	v_dual_mul_f64 v[2:3], v[4:5], -v[2:3] :: v_dual_mov_b32 v5, v10
	v_mov_b32_e32 v4, v1
.LBB17_22:                              ;   Parent Loop BB17_6 Depth=1
                                        ; =>  This Inner Loop Header: Depth=2
	flat_load_b64 v[16:17], v5, s[10:11] scale_offset
	ds_load_b64 v[18:19], v4
	v_add_nc_u32_e32 v6, 0x100, v6
	v_add_nc_u32_e32 v4, 0x800, v4
	s_delay_alu instid0(VALU_DEP_2)
	v_cmp_le_i32_e32 vcc_lo, s13, v6
	s_or_b32 s15, vcc_lo, s15
	s_wait_loadcnt_dscnt 0x0
	v_fmac_f64_e32 v[16:17], v[2:3], v[18:19]
	flat_store_b64 v5, v[16:17], s[10:11] scale_offset
	s_wait_xcnt 0x0
	v_add_nc_u32_e32 v5, s14, v5
	s_and_not1_b32 exec_lo, exec_lo, s15
	s_cbranch_execnz .LBB17_22
	s_branch .LBB17_5
.LBB17_23:
	s_endpgm
	.section	.rodata,"a",@progbits
	.p2align	6, 0x0
	.amdhsa_kernel _ZN9rocsolver6v33100L23larf_right_kernel_smallILi256EdiPKPdEEvT1_S5_T2_lS5_lPKT0_lS6_lS5_l
		.amdhsa_group_segment_fixed_size 16448
		.amdhsa_private_segment_fixed_size 0
		.amdhsa_kernarg_size 88
		.amdhsa_user_sgpr_count 2
		.amdhsa_user_sgpr_dispatch_ptr 0
		.amdhsa_user_sgpr_queue_ptr 0
		.amdhsa_user_sgpr_kernarg_segment_ptr 1
		.amdhsa_user_sgpr_dispatch_id 0
		.amdhsa_user_sgpr_kernarg_preload_length 0
		.amdhsa_user_sgpr_kernarg_preload_offset 0
		.amdhsa_user_sgpr_private_segment_size 0
		.amdhsa_wavefront_size32 1
		.amdhsa_uses_dynamic_stack 0
		.amdhsa_enable_private_segment 0
		.amdhsa_system_sgpr_workgroup_id_x 1
		.amdhsa_system_sgpr_workgroup_id_y 1
		.amdhsa_system_sgpr_workgroup_id_z 0
		.amdhsa_system_sgpr_workgroup_info 0
		.amdhsa_system_vgpr_workitem_id 0
		.amdhsa_next_free_vgpr 24
		.amdhsa_next_free_sgpr 28
		.amdhsa_named_barrier_count 0
		.amdhsa_reserve_vcc 1
		.amdhsa_float_round_mode_32 0
		.amdhsa_float_round_mode_16_64 0
		.amdhsa_float_denorm_mode_32 3
		.amdhsa_float_denorm_mode_16_64 3
		.amdhsa_fp16_overflow 0
		.amdhsa_memory_ordered 1
		.amdhsa_forward_progress 1
		.amdhsa_inst_pref_size 10
		.amdhsa_round_robin_scheduling 0
		.amdhsa_exception_fp_ieee_invalid_op 0
		.amdhsa_exception_fp_denorm_src 0
		.amdhsa_exception_fp_ieee_div_zero 0
		.amdhsa_exception_fp_ieee_overflow 0
		.amdhsa_exception_fp_ieee_underflow 0
		.amdhsa_exception_fp_ieee_inexact 0
		.amdhsa_exception_int_div_zero 0
	.end_amdhsa_kernel
	.section	.text._ZN9rocsolver6v33100L23larf_right_kernel_smallILi256EdiPKPdEEvT1_S5_T2_lS5_lPKT0_lS6_lS5_l,"axG",@progbits,_ZN9rocsolver6v33100L23larf_right_kernel_smallILi256EdiPKPdEEvT1_S5_T2_lS5_lPKT0_lS6_lS5_l,comdat
.Lfunc_end17:
	.size	_ZN9rocsolver6v33100L23larf_right_kernel_smallILi256EdiPKPdEEvT1_S5_T2_lS5_lPKT0_lS6_lS5_l, .Lfunc_end17-_ZN9rocsolver6v33100L23larf_right_kernel_smallILi256EdiPKPdEEvT1_S5_T2_lS5_lPKT0_lS6_lS5_l
                                        ; -- End function
	.set _ZN9rocsolver6v33100L23larf_right_kernel_smallILi256EdiPKPdEEvT1_S5_T2_lS5_lPKT0_lS6_lS5_l.num_vgpr, 24
	.set _ZN9rocsolver6v33100L23larf_right_kernel_smallILi256EdiPKPdEEvT1_S5_T2_lS5_lPKT0_lS6_lS5_l.num_agpr, 0
	.set _ZN9rocsolver6v33100L23larf_right_kernel_smallILi256EdiPKPdEEvT1_S5_T2_lS5_lPKT0_lS6_lS5_l.numbered_sgpr, 28
	.set _ZN9rocsolver6v33100L23larf_right_kernel_smallILi256EdiPKPdEEvT1_S5_T2_lS5_lPKT0_lS6_lS5_l.num_named_barrier, 0
	.set _ZN9rocsolver6v33100L23larf_right_kernel_smallILi256EdiPKPdEEvT1_S5_T2_lS5_lPKT0_lS6_lS5_l.private_seg_size, 0
	.set _ZN9rocsolver6v33100L23larf_right_kernel_smallILi256EdiPKPdEEvT1_S5_T2_lS5_lPKT0_lS6_lS5_l.uses_vcc, 1
	.set _ZN9rocsolver6v33100L23larf_right_kernel_smallILi256EdiPKPdEEvT1_S5_T2_lS5_lPKT0_lS6_lS5_l.uses_flat_scratch, 0
	.set _ZN9rocsolver6v33100L23larf_right_kernel_smallILi256EdiPKPdEEvT1_S5_T2_lS5_lPKT0_lS6_lS5_l.has_dyn_sized_stack, 0
	.set _ZN9rocsolver6v33100L23larf_right_kernel_smallILi256EdiPKPdEEvT1_S5_T2_lS5_lPKT0_lS6_lS5_l.has_recursion, 0
	.set _ZN9rocsolver6v33100L23larf_right_kernel_smallILi256EdiPKPdEEvT1_S5_T2_lS5_lPKT0_lS6_lS5_l.has_indirect_call, 0
	.section	.AMDGPU.csdata,"",@progbits
; Kernel info:
; codeLenInByte = 1212
; TotalNumSgprs: 30
; NumVgprs: 24
; ScratchSize: 0
; MemoryBound: 0
; FloatMode: 240
; IeeeMode: 1
; LDSByteSize: 16448 bytes/workgroup (compile time only)
; SGPRBlocks: 0
; VGPRBlocks: 1
; NumSGPRsForWavesPerEU: 30
; NumVGPRsForWavesPerEU: 24
; NamedBarCnt: 0
; Occupancy: 16
; WaveLimiterHint : 1
; COMPUTE_PGM_RSRC2:SCRATCH_EN: 0
; COMPUTE_PGM_RSRC2:USER_SGPR: 2
; COMPUTE_PGM_RSRC2:TRAP_HANDLER: 0
; COMPUTE_PGM_RSRC2:TGID_X_EN: 1
; COMPUTE_PGM_RSRC2:TGID_Y_EN: 1
; COMPUTE_PGM_RSRC2:TGID_Z_EN: 0
; COMPUTE_PGM_RSRC2:TIDIG_COMP_CNT: 0
	.section	.text._ZN9rocsolver6v33100L23larf_right_kernel_smallILi512EdiPKPdEEvT1_S5_T2_lS5_lPKT0_lS6_lS5_l,"axG",@progbits,_ZN9rocsolver6v33100L23larf_right_kernel_smallILi512EdiPKPdEEvT1_S5_T2_lS5_lPKT0_lS6_lS5_l,comdat
	.globl	_ZN9rocsolver6v33100L23larf_right_kernel_smallILi512EdiPKPdEEvT1_S5_T2_lS5_lPKT0_lS6_lS5_l ; -- Begin function _ZN9rocsolver6v33100L23larf_right_kernel_smallILi512EdiPKPdEEvT1_S5_T2_lS5_lPKT0_lS6_lS5_l
	.p2align	8
	.type	_ZN9rocsolver6v33100L23larf_right_kernel_smallILi512EdiPKPdEEvT1_S5_T2_lS5_lPKT0_lS6_lS5_l,@function
_ZN9rocsolver6v33100L23larf_right_kernel_smallILi512EdiPKPdEEvT1_S5_T2_lS5_lPKT0_lS6_lS5_l: ; @_ZN9rocsolver6v33100L23larf_right_kernel_smallILi512EdiPKPdEEvT1_S5_T2_lS5_lPKT0_lS6_lS5_l
; %bb.0:
	s_load_b256 s[4:11], s[0:1], 0x28
	s_bfe_u32 s2, ttmp6, 0x4000c
	s_and_b32 s12, ttmp6, 15
	s_add_co_i32 s2, s2, 1
	s_getreg_b32 s3, hwreg(HW_REG_IB_STS2, 6, 4)
	s_mul_i32 s2, ttmp9, s2
	v_lshlrev_b32_e32 v1, 3, v0
	s_add_co_i32 s12, s12, s2
	s_cmp_eq_u32 s3, 0
	s_mov_b32 s21, 0
	s_cselect_b32 s16, ttmp9, s12
	s_load_b64 s[12:13], s[0:1], 0x0
	s_ashr_i32 s17, s16, 31
	s_delay_alu instid0(SALU_CYCLE_1)
	s_lshl_b64 s[18:19], s[16:17], 3
	s_wait_kmcnt 0x0
	s_add_nc_u64 s[8:9], s[8:9], s[18:19]
	s_load_b64 s[14:15], s[8:9], 0x0
	v_cmp_gt_i32_e64 s2, s13, v0
	s_and_saveexec_b32 s20, s2
	s_cbranch_execz .LBB18_3
; %bb.1:
	s_clause 0x1
	s_load_b128 s[24:27], s[0:1], 0x8
	s_load_b32 s22, s[0:1], 0x18
	s_sub_co_i32 s23, 1, s13
	v_dual_mov_b32 v4, v0 :: v_dual_lshlrev_b32 v3, 3, v0
	s_wait_kmcnt 0x0
	s_add_nc_u64 s[8:9], s[24:25], s[18:19]
	s_lshl_b64 s[18:19], s[26:27], 3
	s_load_b64 s[8:9], s[8:9], 0x0
	s_mul_i32 s23, s22, s23
	s_cmp_lt_i32 s22, 1
	s_cselect_b32 s23, s23, 0
	s_delay_alu instid0(SALU_CYCLE_1)
	v_mad_u32 v2, v0, s22, s23
	s_wait_kmcnt 0x0
	s_add_nc_u64 s[8:9], s[8:9], s[18:19]
	s_lshl_b32 s18, s22, 9
.LBB18_2:                               ; =>This Inner Loop Header: Depth=1
	flat_load_b64 v[6:7], v2, s[8:9] scale_offset
	v_add_nc_u32_e32 v4, 0x200, v4
	s_wait_xcnt 0x0
	v_add_nc_u32_e32 v2, s18, v2
	s_delay_alu instid0(VALU_DEP_2)
	v_cmp_le_i32_e32 vcc_lo, s13, v4
	s_or_b32 s21, vcc_lo, s21
	s_wait_loadcnt_dscnt 0x0
	ds_store_b64 v3, v[6:7]
	v_add_nc_u32_e32 v3, 0x1000, v3
	s_and_not1_b32 exec_lo, exec_lo, s21
	s_cbranch_execnz .LBB18_2
.LBB18_3:
	s_or_b32 exec_lo, exec_lo, s20
	s_wait_xcnt 0x0
	s_bfe_u32 s8, ttmp6, 0x40010
	s_bfe_u32 s9, ttmp6, 0x40004
	s_add_co_i32 s8, s8, 1
	s_wait_dscnt 0x0
	s_mul_i32 s8, ttmp7, s8
	s_barrier_signal -1
	s_add_co_i32 s9, s9, s8
	s_cmp_eq_u32 s3, 0
	s_barrier_wait -1
	s_cselect_b32 s8, ttmp7, s9
	s_delay_alu instid0(SALU_CYCLE_1)
	s_cmp_ge_i32 s8, s12
	s_cbranch_scc1 .LBB18_23
; %bb.4:
	s_load_b32 s9, s[0:1], 0x48
	v_dual_lshrrev_b32 v8, 2, v0 :: v_dual_bitop2_b32 v2, 31, v0 bitop3:0x40
	v_mbcnt_lo_u32_b32 v9, -1, 0
	s_lshl_b64 s[10:11], s[10:11], 3
	s_mul_u64 s[16:17], s[6:7], s[16:17]
	s_wait_xcnt 0x0
	v_cmp_eq_u32_e64 s0, 0, v0
	v_dual_mov_b32 v10, 0x4008 :: v_dual_mov_b32 v19, 0
	s_wait_kmcnt 0x0
	s_add_nc_u64 s[6:7], s[14:15], s[10:11]
	s_lshl_b64 s[10:11], s[16:17], 3
	v_cmp_eq_u32_e64 s1, 0, v2
	v_lshl_or_b32 v11, v9, 2, 64
	v_mov_b32_e32 v13, 0x4018
	v_mov_b32_e32 v14, 0x4028
	;; [unrolled: 1-line block ×6, first 2 shown]
	s_cmp_gt_i32 s13, 1
	v_mul_lo_u32 v12, v0, s9
	s_add_nc_u64 s[4:5], s[4:5], s[10:11]
	s_cselect_b32 s3, -1, 0
	s_lshl_b32 s14, s9, 9
	s_branch .LBB18_6
.LBB18_5:                               ;   in Loop: Header=BB18_6 Depth=1
	s_or_b32 exec_lo, exec_lo, s9
	s_add_co_i32 s8, s8, 64
	s_delay_alu instid0(SALU_CYCLE_1)
	s_cmp_ge_i32 s8, s12
	s_cbranch_scc1 .LBB18_23
.LBB18_6:                               ; =>This Loop Header: Depth=1
                                        ;     Child Loop BB18_8 Depth 2
                                        ;     Child Loop BB18_22 Depth 2
	v_mov_b64_e32 v[2:3], 0
	s_ashr_i32 s9, s8, 31
	s_delay_alu instid0(SALU_CYCLE_1) | instskip(NEXT) | instid1(SALU_CYCLE_1)
	s_lshl_b64 s[10:11], s[8:9], 3
	s_add_nc_u64 s[10:11], s[6:7], s[10:11]
	s_and_saveexec_b32 s9, s2
	s_cbranch_execz .LBB18_10
; %bb.7:                                ;   in Loop: Header=BB18_6 Depth=1
	v_mov_b64_e32 v[2:3], 0
	v_dual_mov_b32 v4, v12 :: v_dual_mov_b32 v5, v1
	v_mov_b32_e32 v6, v0
	s_mov_b32 s15, 0
.LBB18_8:                               ;   Parent Loop BB18_6 Depth=1
                                        ; =>  This Inner Loop Header: Depth=2
	flat_load_b64 v[20:21], v4, s[10:11] scale_offset
	ds_load_b64 v[22:23], v5
	v_add_nc_u32_e32 v6, 0x200, v6
	v_add_nc_u32_e32 v5, 0x1000, v5
	s_wait_xcnt 0x0
	v_add_nc_u32_e32 v4, s14, v4
	s_delay_alu instid0(VALU_DEP_3)
	v_cmp_le_i32_e32 vcc_lo, s13, v6
	s_or_b32 s15, vcc_lo, s15
	s_wait_loadcnt_dscnt 0x0
	v_fmac_f64_e32 v[2:3], v[22:23], v[20:21]
	s_and_not1_b32 exec_lo, exec_lo, s15
	s_cbranch_execnz .LBB18_8
; %bb.9:                                ;   in Loop: Header=BB18_6 Depth=1
	s_or_b32 exec_lo, exec_lo, s15
.LBB18_10:                              ;   in Loop: Header=BB18_6 Depth=1
	s_delay_alu instid0(SALU_CYCLE_1) | instskip(NEXT) | instid1(SALU_CYCLE_1)
	s_or_b32 exec_lo, exec_lo, s9
	s_and_b32 vcc_lo, exec_lo, s3
	s_cbranch_vccz .LBB18_17
; %bb.11:                               ;   in Loop: Header=BB18_6 Depth=1
	v_cmp_ne_u32_e32 vcc_lo, 31, v9
	v_add_co_ci_u32_e64 v4, null, 0, v9, vcc_lo
	v_cmp_gt_u32_e32 vcc_lo, 30, v9
	s_delay_alu instid0(VALU_DEP_2)
	v_lshlrev_b32_e32 v5, 2, v4
	v_cndmask_b32_e64 v6, 0, 2, vcc_lo
	v_cmp_gt_u32_e32 vcc_lo, 28, v9
	ds_bpermute_b32 v4, v5, v2
	ds_bpermute_b32 v5, v5, v3
	v_add_lshl_u32 v7, v6, v9, 2
	s_wait_dscnt 0x0
	v_add_f64_e32 v[4:5], v[2:3], v[4:5]
	ds_bpermute_b32 v6, v7, v4
	ds_bpermute_b32 v7, v7, v5
	s_wait_dscnt 0x0
	v_add_f64_e32 v[4:5], v[4:5], v[6:7]
	v_cndmask_b32_e64 v6, 0, 4, vcc_lo
	v_cmp_gt_u32_e32 vcc_lo, 24, v9
	s_delay_alu instid0(VALU_DEP_2)
	v_add_lshl_u32 v7, v6, v9, 2
	ds_bpermute_b32 v6, v7, v4
	ds_bpermute_b32 v7, v7, v5
	s_wait_dscnt 0x0
	v_add_f64_e32 v[4:5], v[4:5], v[6:7]
	v_cndmask_b32_e64 v6, 0, 8, vcc_lo
	s_delay_alu instid0(VALU_DEP_1)
	v_add_lshl_u32 v7, v6, v9, 2
	ds_bpermute_b32 v6, v7, v4
	ds_bpermute_b32 v7, v7, v5
	s_wait_dscnt 0x0
	v_add_f64_e32 v[4:5], v[4:5], v[6:7]
	ds_bpermute_b32 v6, v11, v4
	ds_bpermute_b32 v7, v11, v5
	s_wait_dscnt 0x0
	v_add_f64_e32 v[4:5], v[4:5], v[6:7]
	s_and_saveexec_b32 s9, s1
; %bb.12:                               ;   in Loop: Header=BB18_6 Depth=1
	ds_store_b64 v8, v[4:5] offset:16384
; %bb.13:                               ;   in Loop: Header=BB18_6 Depth=1
	s_or_b32 exec_lo, exec_lo, s9
	s_mov_b32 s15, 0
	s_mov_b32 s9, 0
	s_wait_dscnt 0x0
	s_barrier_signal -1
	s_barrier_wait -1
                                        ; implicit-def: $vgpr6_vgpr7
	s_and_saveexec_b32 s16, s0
	s_delay_alu instid0(SALU_CYCLE_1)
	s_xor_b32 s16, exec_lo, s16
	s_cbranch_execz .LBB18_15
; %bb.14:                               ;   in Loop: Header=BB18_6 Depth=1
	ds_load_2addr_b64 v[20:23], v10 offset1:1
	ds_load_2addr_b64 v[24:27], v13 offset1:1
	s_mov_b32 s9, exec_lo
	s_wait_dscnt 0x1
	v_add_f64_e32 v[4:5], v[4:5], v[20:21]
	s_delay_alu instid0(VALU_DEP_1) | instskip(SKIP_1) | instid1(VALU_DEP_1)
	v_add_f64_e32 v[4:5], v[4:5], v[22:23]
	s_wait_dscnt 0x0
	v_add_f64_e32 v[4:5], v[4:5], v[24:25]
	s_delay_alu instid0(VALU_DEP_1) | instskip(SKIP_4) | instid1(VALU_DEP_1)
	v_add_f64_e32 v[24:25], v[4:5], v[26:27]
	ds_load_2addr_b64 v[4:7], v14 offset1:1
	ds_load_2addr_b64 v[20:23], v15 offset1:1
	s_wait_dscnt 0x1
	v_add_f64_e32 v[4:5], v[24:25], v[4:5]
	v_add_f64_e32 v[4:5], v[4:5], v[6:7]
	s_wait_dscnt 0x0
	s_delay_alu instid0(VALU_DEP_1) | instskip(NEXT) | instid1(VALU_DEP_1)
	v_add_f64_e32 v[4:5], v[4:5], v[20:21]
	v_add_f64_e32 v[24:25], v[4:5], v[22:23]
	ds_load_2addr_b64 v[4:7], v16 offset1:1
	ds_load_2addr_b64 v[20:23], v17 offset1:1
	s_wait_dscnt 0x1
	v_add_f64_e32 v[4:5], v[24:25], v[4:5]
	s_delay_alu instid0(VALU_DEP_1) | instskip(SKIP_1) | instid1(VALU_DEP_1)
	v_add_f64_e32 v[4:5], v[4:5], v[6:7]
	s_wait_dscnt 0x0
	v_add_f64_e32 v[4:5], v[4:5], v[20:21]
	s_delay_alu instid0(VALU_DEP_1) | instskip(SKIP_4) | instid1(VALU_DEP_1)
	v_add_f64_e32 v[20:21], v[4:5], v[22:23]
	ds_load_2addr_b64 v[4:7], v18 offset1:1
	ds_load_b64 v[22:23], v19 offset:16504
	s_wait_dscnt 0x1
	v_add_f64_e32 v[4:5], v[20:21], v[4:5]
	v_add_f64_e32 v[4:5], v[4:5], v[6:7]
	s_wait_dscnt 0x0
	s_delay_alu instid0(VALU_DEP_1)
	v_add_f64_e32 v[6:7], v[4:5], v[22:23]
.LBB18_15:                              ;   in Loop: Header=BB18_6 Depth=1
	s_or_b32 exec_lo, exec_lo, s16
	s_delay_alu instid0(SALU_CYCLE_1)
	s_and_b32 vcc_lo, exec_lo, s15
	s_cbranch_vccnz .LBB18_18
.LBB18_16:                              ;   in Loop: Header=BB18_6 Depth=1
	s_delay_alu instid0(VALU_DEP_1)
	v_mov_b64_e32 v[2:3], v[6:7]
	s_and_saveexec_b32 s15, s9
	s_cbranch_execnz .LBB18_19
	s_branch .LBB18_20
.LBB18_17:                              ;   in Loop: Header=BB18_6 Depth=1
	s_mov_b32 s9, 0
                                        ; implicit-def: $vgpr6_vgpr7
	s_cbranch_execz .LBB18_16
.LBB18_18:                              ;   in Loop: Header=BB18_6 Depth=1
	s_and_not1_b32 s9, s9, exec_lo
	s_and_b32 s15, s0, exec_lo
	s_delay_alu instid0(SALU_CYCLE_1) | instskip(NEXT) | instid1(SALU_CYCLE_1)
	s_or_b32 s9, s9, s15
	s_and_saveexec_b32 s15, s9
.LBB18_19:                              ;   in Loop: Header=BB18_6 Depth=1
	ds_store_b64 v19, v[2:3] offset:16384
.LBB18_20:                              ;   in Loop: Header=BB18_6 Depth=1
	s_or_b32 exec_lo, exec_lo, s15
	s_wait_dscnt 0x0
	s_barrier_signal -1
	s_barrier_wait -1
	s_and_saveexec_b32 s9, s2
	s_cbranch_execz .LBB18_5
; %bb.21:                               ;   in Loop: Header=BB18_6 Depth=1
	global_load_b64 v[2:3], v19, s[4:5]
	ds_load_b64 v[4:5], v19 offset:16384
	v_mov_b32_e32 v6, v0
	s_mov_b32 s15, 0
	s_wait_loadcnt_dscnt 0x0
	v_mul_f64_e64 v[2:3], v[4:5], -v[2:3]
	v_dual_mov_b32 v4, v1 :: v_dual_mov_b32 v5, v12
.LBB18_22:                              ;   Parent Loop BB18_6 Depth=1
                                        ; =>  This Inner Loop Header: Depth=2
	flat_load_b64 v[20:21], v5, s[10:11] scale_offset
	ds_load_b64 v[22:23], v4
	v_add_nc_u32_e32 v6, 0x200, v6
	v_add_nc_u32_e32 v4, 0x1000, v4
	s_delay_alu instid0(VALU_DEP_2)
	v_cmp_le_i32_e32 vcc_lo, s13, v6
	s_or_b32 s15, vcc_lo, s15
	s_wait_loadcnt_dscnt 0x0
	v_fmac_f64_e32 v[20:21], v[2:3], v[22:23]
	flat_store_b64 v5, v[20:21], s[10:11] scale_offset
	s_wait_xcnt 0x0
	v_add_nc_u32_e32 v5, s14, v5
	s_and_not1_b32 exec_lo, exec_lo, s15
	s_cbranch_execnz .LBB18_22
	s_branch .LBB18_5
.LBB18_23:
	s_endpgm
	.section	.rodata,"a",@progbits
	.p2align	6, 0x0
	.amdhsa_kernel _ZN9rocsolver6v33100L23larf_right_kernel_smallILi512EdiPKPdEEvT1_S5_T2_lS5_lPKT0_lS6_lS5_l
		.amdhsa_group_segment_fixed_size 16512
		.amdhsa_private_segment_fixed_size 0
		.amdhsa_kernarg_size 88
		.amdhsa_user_sgpr_count 2
		.amdhsa_user_sgpr_dispatch_ptr 0
		.amdhsa_user_sgpr_queue_ptr 0
		.amdhsa_user_sgpr_kernarg_segment_ptr 1
		.amdhsa_user_sgpr_dispatch_id 0
		.amdhsa_user_sgpr_kernarg_preload_length 0
		.amdhsa_user_sgpr_kernarg_preload_offset 0
		.amdhsa_user_sgpr_private_segment_size 0
		.amdhsa_wavefront_size32 1
		.amdhsa_uses_dynamic_stack 0
		.amdhsa_enable_private_segment 0
		.amdhsa_system_sgpr_workgroup_id_x 1
		.amdhsa_system_sgpr_workgroup_id_y 1
		.amdhsa_system_sgpr_workgroup_id_z 0
		.amdhsa_system_sgpr_workgroup_info 0
		.amdhsa_system_vgpr_workitem_id 0
		.amdhsa_next_free_vgpr 28
		.amdhsa_next_free_sgpr 28
		.amdhsa_named_barrier_count 0
		.amdhsa_reserve_vcc 1
		.amdhsa_float_round_mode_32 0
		.amdhsa_float_round_mode_16_64 0
		.amdhsa_float_denorm_mode_32 3
		.amdhsa_float_denorm_mode_16_64 3
		.amdhsa_fp16_overflow 0
		.amdhsa_memory_ordered 1
		.amdhsa_forward_progress 1
		.amdhsa_inst_pref_size 11
		.amdhsa_round_robin_scheduling 0
		.amdhsa_exception_fp_ieee_invalid_op 0
		.amdhsa_exception_fp_denorm_src 0
		.amdhsa_exception_fp_ieee_div_zero 0
		.amdhsa_exception_fp_ieee_overflow 0
		.amdhsa_exception_fp_ieee_underflow 0
		.amdhsa_exception_fp_ieee_inexact 0
		.amdhsa_exception_int_div_zero 0
	.end_amdhsa_kernel
	.section	.text._ZN9rocsolver6v33100L23larf_right_kernel_smallILi512EdiPKPdEEvT1_S5_T2_lS5_lPKT0_lS6_lS5_l,"axG",@progbits,_ZN9rocsolver6v33100L23larf_right_kernel_smallILi512EdiPKPdEEvT1_S5_T2_lS5_lPKT0_lS6_lS5_l,comdat
.Lfunc_end18:
	.size	_ZN9rocsolver6v33100L23larf_right_kernel_smallILi512EdiPKPdEEvT1_S5_T2_lS5_lPKT0_lS6_lS5_l, .Lfunc_end18-_ZN9rocsolver6v33100L23larf_right_kernel_smallILi512EdiPKPdEEvT1_S5_T2_lS5_lPKT0_lS6_lS5_l
                                        ; -- End function
	.set _ZN9rocsolver6v33100L23larf_right_kernel_smallILi512EdiPKPdEEvT1_S5_T2_lS5_lPKT0_lS6_lS5_l.num_vgpr, 28
	.set _ZN9rocsolver6v33100L23larf_right_kernel_smallILi512EdiPKPdEEvT1_S5_T2_lS5_lPKT0_lS6_lS5_l.num_agpr, 0
	.set _ZN9rocsolver6v33100L23larf_right_kernel_smallILi512EdiPKPdEEvT1_S5_T2_lS5_lPKT0_lS6_lS5_l.numbered_sgpr, 28
	.set _ZN9rocsolver6v33100L23larf_right_kernel_smallILi512EdiPKPdEEvT1_S5_T2_lS5_lPKT0_lS6_lS5_l.num_named_barrier, 0
	.set _ZN9rocsolver6v33100L23larf_right_kernel_smallILi512EdiPKPdEEvT1_S5_T2_lS5_lPKT0_lS6_lS5_l.private_seg_size, 0
	.set _ZN9rocsolver6v33100L23larf_right_kernel_smallILi512EdiPKPdEEvT1_S5_T2_lS5_lPKT0_lS6_lS5_l.uses_vcc, 1
	.set _ZN9rocsolver6v33100L23larf_right_kernel_smallILi512EdiPKPdEEvT1_S5_T2_lS5_lPKT0_lS6_lS5_l.uses_flat_scratch, 0
	.set _ZN9rocsolver6v33100L23larf_right_kernel_smallILi512EdiPKPdEEvT1_S5_T2_lS5_lPKT0_lS6_lS5_l.has_dyn_sized_stack, 0
	.set _ZN9rocsolver6v33100L23larf_right_kernel_smallILi512EdiPKPdEEvT1_S5_T2_lS5_lPKT0_lS6_lS5_l.has_recursion, 0
	.set _ZN9rocsolver6v33100L23larf_right_kernel_smallILi512EdiPKPdEEvT1_S5_T2_lS5_lPKT0_lS6_lS5_l.has_indirect_call, 0
	.section	.AMDGPU.csdata,"",@progbits
; Kernel info:
; codeLenInByte = 1332
; TotalNumSgprs: 30
; NumVgprs: 28
; ScratchSize: 0
; MemoryBound: 0
; FloatMode: 240
; IeeeMode: 1
; LDSByteSize: 16512 bytes/workgroup (compile time only)
; SGPRBlocks: 0
; VGPRBlocks: 1
; NumSGPRsForWavesPerEU: 30
; NumVGPRsForWavesPerEU: 28
; NamedBarCnt: 0
; Occupancy: 16
; WaveLimiterHint : 1
; COMPUTE_PGM_RSRC2:SCRATCH_EN: 0
; COMPUTE_PGM_RSRC2:USER_SGPR: 2
; COMPUTE_PGM_RSRC2:TRAP_HANDLER: 0
; COMPUTE_PGM_RSRC2:TGID_X_EN: 1
; COMPUTE_PGM_RSRC2:TGID_Y_EN: 1
; COMPUTE_PGM_RSRC2:TGID_Z_EN: 0
; COMPUTE_PGM_RSRC2:TIDIG_COMP_CNT: 0
	.section	.text._ZN9rocsolver6v33100L23larf_right_kernel_smallILi1024EdiPKPdEEvT1_S5_T2_lS5_lPKT0_lS6_lS5_l,"axG",@progbits,_ZN9rocsolver6v33100L23larf_right_kernel_smallILi1024EdiPKPdEEvT1_S5_T2_lS5_lPKT0_lS6_lS5_l,comdat
	.globl	_ZN9rocsolver6v33100L23larf_right_kernel_smallILi1024EdiPKPdEEvT1_S5_T2_lS5_lPKT0_lS6_lS5_l ; -- Begin function _ZN9rocsolver6v33100L23larf_right_kernel_smallILi1024EdiPKPdEEvT1_S5_T2_lS5_lPKT0_lS6_lS5_l
	.p2align	8
	.type	_ZN9rocsolver6v33100L23larf_right_kernel_smallILi1024EdiPKPdEEvT1_S5_T2_lS5_lPKT0_lS6_lS5_l,@function
_ZN9rocsolver6v33100L23larf_right_kernel_smallILi1024EdiPKPdEEvT1_S5_T2_lS5_lPKT0_lS6_lS5_l: ; @_ZN9rocsolver6v33100L23larf_right_kernel_smallILi1024EdiPKPdEEvT1_S5_T2_lS5_lPKT0_lS6_lS5_l
; %bb.0:
	s_load_b256 s[4:11], s[0:1], 0x28
	s_bfe_u32 s2, ttmp6, 0x4000c
	s_and_b32 s12, ttmp6, 15
	s_add_co_i32 s2, s2, 1
	s_getreg_b32 s3, hwreg(HW_REG_IB_STS2, 6, 4)
	s_mul_i32 s2, ttmp9, s2
	v_lshlrev_b32_e32 v1, 3, v0
	s_add_co_i32 s12, s12, s2
	s_cmp_eq_u32 s3, 0
	s_mov_b32 s21, 0
	s_cselect_b32 s16, ttmp9, s12
	s_load_b64 s[12:13], s[0:1], 0x0
	s_ashr_i32 s17, s16, 31
	s_delay_alu instid0(SALU_CYCLE_1)
	s_lshl_b64 s[18:19], s[16:17], 3
	s_wait_kmcnt 0x0
	s_add_nc_u64 s[8:9], s[8:9], s[18:19]
	s_load_b64 s[14:15], s[8:9], 0x0
	v_cmp_gt_i32_e64 s2, s13, v0
	s_and_saveexec_b32 s20, s2
	s_cbranch_execz .LBB19_3
; %bb.1:
	s_clause 0x1
	s_load_b128 s[24:27], s[0:1], 0x8
	s_load_b32 s22, s[0:1], 0x18
	s_sub_co_i32 s23, 1, s13
	v_dual_mov_b32 v4, v0 :: v_dual_lshlrev_b32 v3, 3, v0
	s_wait_kmcnt 0x0
	s_add_nc_u64 s[8:9], s[24:25], s[18:19]
	s_lshl_b64 s[18:19], s[26:27], 3
	s_load_b64 s[8:9], s[8:9], 0x0
	s_mul_i32 s23, s22, s23
	s_cmp_lt_i32 s22, 1
	s_cselect_b32 s23, s23, 0
	s_delay_alu instid0(SALU_CYCLE_1)
	v_mad_u32 v2, v0, s22, s23
	s_wait_kmcnt 0x0
	s_add_nc_u64 s[8:9], s[8:9], s[18:19]
	s_lshl_b32 s18, s22, 10
.LBB19_2:                               ; =>This Inner Loop Header: Depth=1
	flat_load_b64 v[6:7], v2, s[8:9] scale_offset
	v_add_nc_u32_e32 v4, 0x400, v4
	s_wait_xcnt 0x0
	v_add_nc_u32_e32 v2, s18, v2
	s_delay_alu instid0(VALU_DEP_2)
	v_cmp_le_i32_e32 vcc_lo, s13, v4
	s_or_b32 s21, vcc_lo, s21
	s_wait_loadcnt_dscnt 0x0
	ds_store_b64 v3, v[6:7]
	v_add_nc_u32_e32 v3, 0x2000, v3
	s_and_not1_b32 exec_lo, exec_lo, s21
	s_cbranch_execnz .LBB19_2
.LBB19_3:
	s_or_b32 exec_lo, exec_lo, s20
	s_wait_xcnt 0x0
	s_bfe_u32 s8, ttmp6, 0x40010
	s_bfe_u32 s9, ttmp6, 0x40004
	s_add_co_i32 s8, s8, 1
	s_wait_dscnt 0x0
	s_mul_i32 s8, ttmp7, s8
	s_barrier_signal -1
	s_add_co_i32 s9, s9, s8
	s_cmp_eq_u32 s3, 0
	s_barrier_wait -1
	s_cselect_b32 s8, ttmp7, s9
	s_delay_alu instid0(SALU_CYCLE_1)
	s_cmp_ge_i32 s8, s12
	s_cbranch_scc1 .LBB19_23
; %bb.4:
	s_load_b32 s9, s[0:1], 0x48
	v_dual_lshrrev_b32 v8, 2, v0 :: v_dual_bitop2_b32 v2, 31, v0 bitop3:0x40
	v_mbcnt_lo_u32_b32 v9, -1, 0
	s_lshl_b64 s[10:11], s[10:11], 3
	s_mul_u64 s[16:17], s[6:7], s[16:17]
	s_wait_xcnt 0x0
	v_cmp_eq_u32_e64 s0, 0, v0
	v_dual_mov_b32 v10, 0x4008 :: v_dual_mov_b32 v27, 0
	v_mov_b32_e32 v11, 0x4018
	v_mov_b32_e32 v12, 0x4028
	;; [unrolled: 1-line block ×7, first 2 shown]
	s_wait_kmcnt 0x0
	s_add_nc_u64 s[6:7], s[14:15], s[10:11]
	s_lshl_b64 s[10:11], s[16:17], 3
	v_cmp_eq_u32_e64 s1, 0, v2
	v_lshl_or_b32 v18, v9, 2, 64
	v_mul_lo_u32 v19, v0, s9
	v_mov_b32_e32 v20, 0x4088
	v_mov_b32_e32 v21, 0x4098
	;; [unrolled: 1-line block ×7, first 2 shown]
	s_cmp_gt_i32 s13, 1
	s_add_nc_u64 s[4:5], s[4:5], s[10:11]
	s_cselect_b32 s3, -1, 0
	s_lshl_b32 s14, s9, 10
	s_branch .LBB19_6
.LBB19_5:                               ;   in Loop: Header=BB19_6 Depth=1
	s_or_b32 exec_lo, exec_lo, s9
	s_add_co_i32 s8, s8, 64
	s_delay_alu instid0(SALU_CYCLE_1)
	s_cmp_ge_i32 s8, s12
	s_cbranch_scc1 .LBB19_23
.LBB19_6:                               ; =>This Loop Header: Depth=1
                                        ;     Child Loop BB19_8 Depth 2
                                        ;     Child Loop BB19_22 Depth 2
	v_mov_b64_e32 v[2:3], 0
	s_ashr_i32 s9, s8, 31
	s_delay_alu instid0(SALU_CYCLE_1) | instskip(NEXT) | instid1(SALU_CYCLE_1)
	s_lshl_b64 s[10:11], s[8:9], 3
	s_add_nc_u64 s[10:11], s[6:7], s[10:11]
	s_and_saveexec_b32 s9, s2
	s_cbranch_execz .LBB19_10
; %bb.7:                                ;   in Loop: Header=BB19_6 Depth=1
	v_mov_b64_e32 v[2:3], 0
	v_dual_mov_b32 v4, v19 :: v_dual_mov_b32 v5, v1
	v_mov_b32_e32 v6, v0
	s_mov_b32 s15, 0
.LBB19_8:                               ;   Parent Loop BB19_6 Depth=1
                                        ; =>  This Inner Loop Header: Depth=2
	flat_load_b64 v[28:29], v4, s[10:11] scale_offset
	ds_load_b64 v[30:31], v5
	v_add_nc_u32_e32 v6, 0x400, v6
	v_add_nc_u32_e32 v5, 0x2000, v5
	s_wait_xcnt 0x0
	v_add_nc_u32_e32 v4, s14, v4
	s_delay_alu instid0(VALU_DEP_3)
	v_cmp_le_i32_e32 vcc_lo, s13, v6
	s_or_b32 s15, vcc_lo, s15
	s_wait_loadcnt_dscnt 0x0
	v_fmac_f64_e32 v[2:3], v[30:31], v[28:29]
	s_and_not1_b32 exec_lo, exec_lo, s15
	s_cbranch_execnz .LBB19_8
; %bb.9:                                ;   in Loop: Header=BB19_6 Depth=1
	s_or_b32 exec_lo, exec_lo, s15
.LBB19_10:                              ;   in Loop: Header=BB19_6 Depth=1
	s_delay_alu instid0(SALU_CYCLE_1) | instskip(NEXT) | instid1(SALU_CYCLE_1)
	s_or_b32 exec_lo, exec_lo, s9
	s_and_b32 vcc_lo, exec_lo, s3
	s_cbranch_vccz .LBB19_17
; %bb.11:                               ;   in Loop: Header=BB19_6 Depth=1
	v_cmp_ne_u32_e32 vcc_lo, 31, v9
	v_add_co_ci_u32_e64 v4, null, 0, v9, vcc_lo
	v_cmp_gt_u32_e32 vcc_lo, 30, v9
	s_delay_alu instid0(VALU_DEP_2)
	v_lshlrev_b32_e32 v5, 2, v4
	v_cndmask_b32_e64 v6, 0, 2, vcc_lo
	v_cmp_gt_u32_e32 vcc_lo, 28, v9
	ds_bpermute_b32 v4, v5, v2
	ds_bpermute_b32 v5, v5, v3
	v_add_lshl_u32 v7, v6, v9, 2
	s_wait_dscnt 0x0
	v_add_f64_e32 v[4:5], v[2:3], v[4:5]
	ds_bpermute_b32 v6, v7, v4
	ds_bpermute_b32 v7, v7, v5
	s_wait_dscnt 0x0
	v_add_f64_e32 v[4:5], v[4:5], v[6:7]
	v_cndmask_b32_e64 v6, 0, 4, vcc_lo
	v_cmp_gt_u32_e32 vcc_lo, 24, v9
	s_delay_alu instid0(VALU_DEP_2)
	v_add_lshl_u32 v7, v6, v9, 2
	ds_bpermute_b32 v6, v7, v4
	ds_bpermute_b32 v7, v7, v5
	s_wait_dscnt 0x0
	v_add_f64_e32 v[4:5], v[4:5], v[6:7]
	v_cndmask_b32_e64 v6, 0, 8, vcc_lo
	s_delay_alu instid0(VALU_DEP_1)
	v_add_lshl_u32 v7, v6, v9, 2
	ds_bpermute_b32 v6, v7, v4
	ds_bpermute_b32 v7, v7, v5
	s_wait_dscnt 0x0
	v_add_f64_e32 v[4:5], v[4:5], v[6:7]
	ds_bpermute_b32 v6, v18, v4
	ds_bpermute_b32 v7, v18, v5
	s_wait_dscnt 0x0
	v_add_f64_e32 v[4:5], v[4:5], v[6:7]
	s_and_saveexec_b32 s9, s1
; %bb.12:                               ;   in Loop: Header=BB19_6 Depth=1
	ds_store_b64 v8, v[4:5] offset:16384
; %bb.13:                               ;   in Loop: Header=BB19_6 Depth=1
	s_or_b32 exec_lo, exec_lo, s9
	s_mov_b32 s15, 0
	s_mov_b32 s9, 0
	s_wait_dscnt 0x0
	s_barrier_signal -1
	s_barrier_wait -1
                                        ; implicit-def: $vgpr6_vgpr7
	s_and_saveexec_b32 s16, s0
	s_delay_alu instid0(SALU_CYCLE_1)
	s_xor_b32 s16, exec_lo, s16
	s_cbranch_execz .LBB19_15
; %bb.14:                               ;   in Loop: Header=BB19_6 Depth=1
	ds_load_2addr_b64 v[28:31], v10 offset1:1
	ds_load_2addr_b64 v[32:35], v11 offset1:1
	s_mov_b32 s9, exec_lo
	s_wait_dscnt 0x1
	v_add_f64_e32 v[4:5], v[4:5], v[28:29]
	s_delay_alu instid0(VALU_DEP_1) | instskip(SKIP_1) | instid1(VALU_DEP_1)
	v_add_f64_e32 v[4:5], v[4:5], v[30:31]
	s_wait_dscnt 0x0
	v_add_f64_e32 v[4:5], v[4:5], v[32:33]
	s_delay_alu instid0(VALU_DEP_1) | instskip(SKIP_4) | instid1(VALU_DEP_1)
	v_add_f64_e32 v[32:33], v[4:5], v[34:35]
	ds_load_2addr_b64 v[4:7], v12 offset1:1
	ds_load_2addr_b64 v[28:31], v13 offset1:1
	s_wait_dscnt 0x1
	v_add_f64_e32 v[4:5], v[32:33], v[4:5]
	v_add_f64_e32 v[4:5], v[4:5], v[6:7]
	s_wait_dscnt 0x0
	s_delay_alu instid0(VALU_DEP_1) | instskip(NEXT) | instid1(VALU_DEP_1)
	v_add_f64_e32 v[4:5], v[4:5], v[28:29]
	v_add_f64_e32 v[32:33], v[4:5], v[30:31]
	ds_load_2addr_b64 v[4:7], v14 offset1:1
	ds_load_2addr_b64 v[28:31], v15 offset1:1
	s_wait_dscnt 0x1
	v_add_f64_e32 v[4:5], v[32:33], v[4:5]
	s_delay_alu instid0(VALU_DEP_1) | instskip(SKIP_1) | instid1(VALU_DEP_1)
	v_add_f64_e32 v[4:5], v[4:5], v[6:7]
	s_wait_dscnt 0x0
	v_add_f64_e32 v[4:5], v[4:5], v[28:29]
	s_delay_alu instid0(VALU_DEP_1) | instskip(SKIP_4) | instid1(VALU_DEP_1)
	v_add_f64_e32 v[32:33], v[4:5], v[30:31]
	ds_load_2addr_b64 v[4:7], v16 offset1:1
	ds_load_2addr_b64 v[28:31], v17 offset1:1
	s_wait_dscnt 0x1
	v_add_f64_e32 v[4:5], v[32:33], v[4:5]
	v_add_f64_e32 v[4:5], v[4:5], v[6:7]
	s_wait_dscnt 0x0
	s_delay_alu instid0(VALU_DEP_1) | instskip(NEXT) | instid1(VALU_DEP_1)
	v_add_f64_e32 v[4:5], v[4:5], v[28:29]
	v_add_f64_e32 v[32:33], v[4:5], v[30:31]
	ds_load_2addr_b64 v[4:7], v20 offset1:1
	ds_load_2addr_b64 v[28:31], v21 offset1:1
	;; [unrolled: 19-line block ×3, first 2 shown]
	s_wait_dscnt 0x1
	v_add_f64_e32 v[4:5], v[32:33], v[4:5]
	s_delay_alu instid0(VALU_DEP_1) | instskip(SKIP_1) | instid1(VALU_DEP_1)
	v_add_f64_e32 v[4:5], v[4:5], v[6:7]
	s_wait_dscnt 0x0
	v_add_f64_e32 v[4:5], v[4:5], v[28:29]
	s_delay_alu instid0(VALU_DEP_1) | instskip(SKIP_4) | instid1(VALU_DEP_1)
	v_add_f64_e32 v[28:29], v[4:5], v[30:31]
	ds_load_2addr_b64 v[4:7], v26 offset1:1
	ds_load_b64 v[30:31], v27 offset:16632
	s_wait_dscnt 0x1
	v_add_f64_e32 v[4:5], v[28:29], v[4:5]
	v_add_f64_e32 v[4:5], v[4:5], v[6:7]
	s_wait_dscnt 0x0
	s_delay_alu instid0(VALU_DEP_1)
	v_add_f64_e32 v[6:7], v[4:5], v[30:31]
.LBB19_15:                              ;   in Loop: Header=BB19_6 Depth=1
	s_or_b32 exec_lo, exec_lo, s16
	s_delay_alu instid0(SALU_CYCLE_1)
	s_and_b32 vcc_lo, exec_lo, s15
	s_cbranch_vccnz .LBB19_18
.LBB19_16:                              ;   in Loop: Header=BB19_6 Depth=1
	s_delay_alu instid0(VALU_DEP_1)
	v_mov_b64_e32 v[2:3], v[6:7]
	s_and_saveexec_b32 s15, s9
	s_cbranch_execnz .LBB19_19
	s_branch .LBB19_20
.LBB19_17:                              ;   in Loop: Header=BB19_6 Depth=1
	s_mov_b32 s9, 0
                                        ; implicit-def: $vgpr6_vgpr7
	s_cbranch_execz .LBB19_16
.LBB19_18:                              ;   in Loop: Header=BB19_6 Depth=1
	s_and_not1_b32 s9, s9, exec_lo
	s_and_b32 s15, s0, exec_lo
	s_delay_alu instid0(SALU_CYCLE_1) | instskip(NEXT) | instid1(SALU_CYCLE_1)
	s_or_b32 s9, s9, s15
	s_and_saveexec_b32 s15, s9
.LBB19_19:                              ;   in Loop: Header=BB19_6 Depth=1
	ds_store_b64 v27, v[2:3] offset:16384
.LBB19_20:                              ;   in Loop: Header=BB19_6 Depth=1
	s_or_b32 exec_lo, exec_lo, s15
	s_wait_dscnt 0x0
	s_barrier_signal -1
	s_barrier_wait -1
	s_and_saveexec_b32 s9, s2
	s_cbranch_execz .LBB19_5
; %bb.21:                               ;   in Loop: Header=BB19_6 Depth=1
	global_load_b64 v[2:3], v27, s[4:5]
	ds_load_b64 v[4:5], v27 offset:16384
	s_mov_b32 s15, 0
	v_mov_b32_e32 v6, v0
	s_wait_loadcnt_dscnt 0x0
	v_dual_mul_f64 v[2:3], v[4:5], -v[2:3] :: v_dual_mov_b32 v5, v19
	v_mov_b32_e32 v4, v1
.LBB19_22:                              ;   Parent Loop BB19_6 Depth=1
                                        ; =>  This Inner Loop Header: Depth=2
	flat_load_b64 v[28:29], v5, s[10:11] scale_offset
	ds_load_b64 v[30:31], v4
	v_add_nc_u32_e32 v6, 0x400, v6
	v_add_nc_u32_e32 v4, 0x2000, v4
	s_delay_alu instid0(VALU_DEP_2)
	v_cmp_le_i32_e32 vcc_lo, s13, v6
	s_or_b32 s15, vcc_lo, s15
	s_wait_loadcnt_dscnt 0x0
	v_fmac_f64_e32 v[28:29], v[2:3], v[30:31]
	flat_store_b64 v5, v[28:29], s[10:11] scale_offset
	s_wait_xcnt 0x0
	v_add_nc_u32_e32 v5, s14, v5
	s_and_not1_b32 exec_lo, exec_lo, s15
	s_cbranch_execnz .LBB19_22
	s_branch .LBB19_5
.LBB19_23:
	s_endpgm
	.section	.rodata,"a",@progbits
	.p2align	6, 0x0
	.amdhsa_kernel _ZN9rocsolver6v33100L23larf_right_kernel_smallILi1024EdiPKPdEEvT1_S5_T2_lS5_lPKT0_lS6_lS5_l
		.amdhsa_group_segment_fixed_size 16640
		.amdhsa_private_segment_fixed_size 0
		.amdhsa_kernarg_size 88
		.amdhsa_user_sgpr_count 2
		.amdhsa_user_sgpr_dispatch_ptr 0
		.amdhsa_user_sgpr_queue_ptr 0
		.amdhsa_user_sgpr_kernarg_segment_ptr 1
		.amdhsa_user_sgpr_dispatch_id 0
		.amdhsa_user_sgpr_kernarg_preload_length 0
		.amdhsa_user_sgpr_kernarg_preload_offset 0
		.amdhsa_user_sgpr_private_segment_size 0
		.amdhsa_wavefront_size32 1
		.amdhsa_uses_dynamic_stack 0
		.amdhsa_enable_private_segment 0
		.amdhsa_system_sgpr_workgroup_id_x 1
		.amdhsa_system_sgpr_workgroup_id_y 1
		.amdhsa_system_sgpr_workgroup_id_z 0
		.amdhsa_system_sgpr_workgroup_info 0
		.amdhsa_system_vgpr_workitem_id 0
		.amdhsa_next_free_vgpr 36
		.amdhsa_next_free_sgpr 28
		.amdhsa_named_barrier_count 0
		.amdhsa_reserve_vcc 1
		.amdhsa_float_round_mode_32 0
		.amdhsa_float_round_mode_16_64 0
		.amdhsa_float_denorm_mode_32 3
		.amdhsa_float_denorm_mode_16_64 3
		.amdhsa_fp16_overflow 0
		.amdhsa_memory_ordered 1
		.amdhsa_forward_progress 1
		.amdhsa_inst_pref_size 13
		.amdhsa_round_robin_scheduling 0
		.amdhsa_exception_fp_ieee_invalid_op 0
		.amdhsa_exception_fp_denorm_src 0
		.amdhsa_exception_fp_ieee_div_zero 0
		.amdhsa_exception_fp_ieee_overflow 0
		.amdhsa_exception_fp_ieee_underflow 0
		.amdhsa_exception_fp_ieee_inexact 0
		.amdhsa_exception_int_div_zero 0
	.end_amdhsa_kernel
	.section	.text._ZN9rocsolver6v33100L23larf_right_kernel_smallILi1024EdiPKPdEEvT1_S5_T2_lS5_lPKT0_lS6_lS5_l,"axG",@progbits,_ZN9rocsolver6v33100L23larf_right_kernel_smallILi1024EdiPKPdEEvT1_S5_T2_lS5_lPKT0_lS6_lS5_l,comdat
.Lfunc_end19:
	.size	_ZN9rocsolver6v33100L23larf_right_kernel_smallILi1024EdiPKPdEEvT1_S5_T2_lS5_lPKT0_lS6_lS5_l, .Lfunc_end19-_ZN9rocsolver6v33100L23larf_right_kernel_smallILi1024EdiPKPdEEvT1_S5_T2_lS5_lPKT0_lS6_lS5_l
                                        ; -- End function
	.set _ZN9rocsolver6v33100L23larf_right_kernel_smallILi1024EdiPKPdEEvT1_S5_T2_lS5_lPKT0_lS6_lS5_l.num_vgpr, 36
	.set _ZN9rocsolver6v33100L23larf_right_kernel_smallILi1024EdiPKPdEEvT1_S5_T2_lS5_lPKT0_lS6_lS5_l.num_agpr, 0
	.set _ZN9rocsolver6v33100L23larf_right_kernel_smallILi1024EdiPKPdEEvT1_S5_T2_lS5_lPKT0_lS6_lS5_l.numbered_sgpr, 28
	.set _ZN9rocsolver6v33100L23larf_right_kernel_smallILi1024EdiPKPdEEvT1_S5_T2_lS5_lPKT0_lS6_lS5_l.num_named_barrier, 0
	.set _ZN9rocsolver6v33100L23larf_right_kernel_smallILi1024EdiPKPdEEvT1_S5_T2_lS5_lPKT0_lS6_lS5_l.private_seg_size, 0
	.set _ZN9rocsolver6v33100L23larf_right_kernel_smallILi1024EdiPKPdEEvT1_S5_T2_lS5_lPKT0_lS6_lS5_l.uses_vcc, 1
	.set _ZN9rocsolver6v33100L23larf_right_kernel_smallILi1024EdiPKPdEEvT1_S5_T2_lS5_lPKT0_lS6_lS5_l.uses_flat_scratch, 0
	.set _ZN9rocsolver6v33100L23larf_right_kernel_smallILi1024EdiPKPdEEvT1_S5_T2_lS5_lPKT0_lS6_lS5_l.has_dyn_sized_stack, 0
	.set _ZN9rocsolver6v33100L23larf_right_kernel_smallILi1024EdiPKPdEEvT1_S5_T2_lS5_lPKT0_lS6_lS5_l.has_recursion, 0
	.set _ZN9rocsolver6v33100L23larf_right_kernel_smallILi1024EdiPKPdEEvT1_S5_T2_lS5_lPKT0_lS6_lS5_l.has_indirect_call, 0
	.section	.AMDGPU.csdata,"",@progbits
; Kernel info:
; codeLenInByte = 1580
; TotalNumSgprs: 30
; NumVgprs: 36
; ScratchSize: 0
; MemoryBound: 0
; FloatMode: 240
; IeeeMode: 1
; LDSByteSize: 16640 bytes/workgroup (compile time only)
; SGPRBlocks: 0
; VGPRBlocks: 2
; NumSGPRsForWavesPerEU: 30
; NumVGPRsForWavesPerEU: 36
; NamedBarCnt: 0
; Occupancy: 16
; WaveLimiterHint : 1
; COMPUTE_PGM_RSRC2:SCRATCH_EN: 0
; COMPUTE_PGM_RSRC2:USER_SGPR: 2
; COMPUTE_PGM_RSRC2:TRAP_HANDLER: 0
; COMPUTE_PGM_RSRC2:TGID_X_EN: 1
; COMPUTE_PGM_RSRC2:TGID_Y_EN: 1
; COMPUTE_PGM_RSRC2:TGID_Z_EN: 0
; COMPUTE_PGM_RSRC2:TIDIG_COMP_CNT: 0
	.section	.text._ZN9rocsolver6v33100L22larf_left_kernel_smallILi64EdlPdEEvT1_S3_T2_lS3_lPKT0_lS4_lS3_l,"axG",@progbits,_ZN9rocsolver6v33100L22larf_left_kernel_smallILi64EdlPdEEvT1_S3_T2_lS3_lPKT0_lS4_lS3_l,comdat
	.globl	_ZN9rocsolver6v33100L22larf_left_kernel_smallILi64EdlPdEEvT1_S3_T2_lS3_lPKT0_lS4_lS3_l ; -- Begin function _ZN9rocsolver6v33100L22larf_left_kernel_smallILi64EdlPdEEvT1_S3_T2_lS3_lPKT0_lS4_lS3_l
	.p2align	8
	.type	_ZN9rocsolver6v33100L22larf_left_kernel_smallILi64EdlPdEEvT1_S3_T2_lS3_lPKT0_lS4_lS3_l,@function
_ZN9rocsolver6v33100L22larf_left_kernel_smallILi64EdlPdEEvT1_S3_T2_lS3_lPKT0_lS4_lS3_l: ; @_ZN9rocsolver6v33100L22larf_left_kernel_smallILi64EdlPdEEvT1_S3_T2_lS3_lPKT0_lS4_lS3_l
; %bb.0:
	s_load_b512 s[4:19], s[0:1], 0x0
	s_mov_b64 s[20:21], 0
	s_wait_kmcnt 0x0
	v_cmp_gt_i64_e64 s2, s[12:13], 0
	s_and_b32 vcc_lo, exec_lo, s2
	s_cbranch_vccnz .LBB20_2
; %bb.1:
	s_sub_nc_u64 s[2:3], 1, s[4:5]
	s_delay_alu instid0(SALU_CYCLE_1)
	s_mul_u64 s[20:21], s[12:13], s[2:3]
.LBB20_2:
	s_bfe_u32 s2, ttmp6, 0x4000c
	v_dual_mov_b32 v1, 0 :: v_dual_lshlrev_b32 v12, 3, v0
	s_add_co_i32 s2, s2, 1
	s_and_b32 s3, ttmp6, 15
	s_mul_i32 s22, ttmp9, s2
	s_delay_alu instid0(VALU_DEP_1)
	v_cmp_gt_i64_e64 s2, s[4:5], v[0:1]
	s_add_co_i32 s22, s3, s22
	s_getreg_b32 s3, hwreg(HW_REG_IB_STS2, 6, 4)
	s_mov_b32 s23, 0
	s_cmp_eq_u32 s3, 0
	s_cselect_b32 s22, ttmp9, s22
	s_and_saveexec_b32 s24, s2
	s_cbranch_execz .LBB20_5
; %bb.3:
	v_mul_u64_e32 v[2:3], s[12:13], v[0:1]
	s_lshl_b64 s[10:11], s[10:11], 3
	s_mul_u64 s[14:15], s[14:15], s[22:23]
	s_lshl_b64 s[20:21], s[20:21], 3
	s_add_nc_u64 s[8:9], s[8:9], s[10:11]
	s_lshl_b64 s[10:11], s[14:15], 3
	s_add_nc_u64 s[8:9], s[8:9], s[20:21]
	v_mov_b64_e32 v[4:5], v[0:1]
	s_add_nc_u64 s[8:9], s[8:9], s[10:11]
	v_lshlrev_b32_e32 v6, 3, v0
	s_mov_b32 s10, s23
	s_delay_alu instid0(VALU_DEP_3)
	v_lshl_add_u64 v[2:3], v[2:3], 3, s[8:9]
	s_lshl_b64 s[8:9], s[12:13], 9
.LBB20_4:                               ; =>This Inner Loop Header: Depth=1
	global_load_b64 v[8:9], v[2:3], off
	v_add_nc_u64_e32 v[4:5], 64, v[4:5]
	s_wait_xcnt 0x0
	v_add_nc_u64_e32 v[2:3], s[8:9], v[2:3]
	s_delay_alu instid0(VALU_DEP_2)
	v_cmp_le_i64_e32 vcc_lo, s[4:5], v[4:5]
	s_or_b32 s10, vcc_lo, s10
	s_wait_loadcnt 0x0
	ds_store_b64 v6, v[8:9]
	v_add_nc_u32_e32 v6, 0x200, v6
	s_and_not1_b32 exec_lo, exec_lo, s10
	s_cbranch_execnz .LBB20_4
.LBB20_5:
	s_or_b32 exec_lo, exec_lo, s24
	s_bfe_u32 s8, ttmp6, 0x40010
	s_bfe_u32 s9, ttmp6, 0x40004
	s_add_co_i32 s8, s8, 1
	s_mov_b32 s21, 0
	s_mul_i32 s8, ttmp7, s8
	s_wait_dscnt 0x0
	s_add_co_i32 s9, s9, s8
	s_cmp_eq_u32 s3, 0
	s_barrier_signal -1
	s_cselect_b32 s20, ttmp7, s9
	s_barrier_wait -1
	v_cmp_le_i64_e64 s3, s[6:7], s[20:21]
	s_and_b32 vcc_lo, exec_lo, s3
	s_cbranch_vccnz .LBB20_25
; %bb.6:
	s_load_b256 s[8:15], s[0:1], 0x40
	s_wait_xcnt 0x0
	s_mul_u64 s[0:1], s[18:19], s[22:23]
	v_dual_mov_b32 v3, 0 :: v_dual_bitop2_b32 v2, 31, v0 bitop3:0x40
	s_lshl_b64 s[24:25], s[0:1], 3
	s_cmp_gt_i32 s4, 1
	v_mbcnt_lo_u32_b32 v13, -1, 0
	s_cselect_b32 s18, -1, 0
	v_cmp_eq_u32_e64 s1, 0, v2
	v_dual_lshlrev_b32 v2, 3, v0 :: v_dual_lshrrev_b32 v14, 2, v0
	v_cmp_gt_i32_e64 s0, s4, v0
	v_cmp_eq_u32_e64 s3, 0, v0
	s_wait_kmcnt 0x0
	s_mul_u64 s[14:15], s[14:15], s[22:23]
	s_mul_u64 s[22:23], s[12:13], s[20:21]
	s_lshl_b64 s[14:15], s[14:15], 3
	s_lshl_b64 s[22:23], s[22:23], 3
	;; [unrolled: 1-line block ×3, first 2 shown]
	s_add_nc_u64 s[14:15], s[14:15], s[22:23]
	s_delay_alu instid0(SALU_CYCLE_1) | instskip(NEXT) | instid1(SALU_CYCLE_1)
	s_add_nc_u64 s[10:11], s[14:15], s[10:11]
	s_add_nc_u64 s[8:9], s[8:9], s[10:11]
	s_lshl_b64 s[10:11], s[12:13], 9
	v_add_nc_u64_e32 v[4:5], s[8:9], v[2:3]
	v_lshl_or_b32 v2, v13, 2, 64
	s_add_nc_u64 s[8:9], s[16:17], s[24:25]
	s_branch .LBB20_8
.LBB20_7:                               ;   in Loop: Header=BB20_8 Depth=1
	s_or_b32 exec_lo, exec_lo, s12
	s_add_nc_u64 s[20:21], s[20:21], 64
	v_add_nc_u64_e32 v[4:5], s[10:11], v[4:5]
	v_cmp_ge_i64_e64 s12, s[20:21], s[6:7]
	s_and_b32 vcc_lo, exec_lo, s12
	s_cbranch_vccnz .LBB20_25
.LBB20_8:                               ; =>This Loop Header: Depth=1
                                        ;     Child Loop BB20_10 Depth 2
                                        ;     Child Loop BB20_24 Depth 2
	v_mov_b64_e32 v[6:7], 0
	s_and_saveexec_b32 s12, s0
	s_cbranch_execz .LBB20_12
; %bb.9:                                ;   in Loop: Header=BB20_8 Depth=1
	v_mov_b64_e32 v[6:7], 0
	v_mov_b64_e32 v[8:9], v[4:5]
	v_dual_mov_b32 v10, v12 :: v_dual_mov_b32 v11, v0
	s_mov_b32 s13, 0
.LBB20_10:                              ;   Parent Loop BB20_8 Depth=1
                                        ; =>  This Inner Loop Header: Depth=2
	global_load_b64 v[16:17], v[8:9], off
	ds_load_b64 v[18:19], v10
	v_add_nc_u32_e32 v11, 64, v11
	s_wait_xcnt 0x0
	v_add_nc_u64_e32 v[8:9], 0x200, v[8:9]
	v_add_nc_u32_e32 v10, 0x200, v10
	s_delay_alu instid0(VALU_DEP_3)
	v_cmp_le_i32_e32 vcc_lo, s4, v11
	s_or_b32 s13, vcc_lo, s13
	s_wait_loadcnt_dscnt 0x0
	v_fmac_f64_e32 v[6:7], v[18:19], v[16:17]
	s_and_not1_b32 exec_lo, exec_lo, s13
	s_cbranch_execnz .LBB20_10
; %bb.11:                               ;   in Loop: Header=BB20_8 Depth=1
	s_or_b32 exec_lo, exec_lo, s13
.LBB20_12:                              ;   in Loop: Header=BB20_8 Depth=1
	s_delay_alu instid0(SALU_CYCLE_1) | instskip(NEXT) | instid1(SALU_CYCLE_1)
	s_or_b32 exec_lo, exec_lo, s12
	s_and_b32 vcc_lo, exec_lo, s18
	s_cbranch_vccz .LBB20_19
; %bb.13:                               ;   in Loop: Header=BB20_8 Depth=1
	v_cmp_ne_u32_e32 vcc_lo, 31, v13
	v_add_co_ci_u32_e64 v8, null, 0, v13, vcc_lo
	v_cmp_gt_u32_e32 vcc_lo, 30, v13
	s_delay_alu instid0(VALU_DEP_2)
	v_lshlrev_b32_e32 v9, 2, v8
	v_cndmask_b32_e64 v10, 0, 2, vcc_lo
	v_cmp_gt_u32_e32 vcc_lo, 28, v13
	ds_bpermute_b32 v8, v9, v6
	ds_bpermute_b32 v9, v9, v7
	v_add_lshl_u32 v11, v10, v13, 2
	s_wait_dscnt 0x0
	v_add_f64_e32 v[8:9], v[6:7], v[8:9]
	ds_bpermute_b32 v10, v11, v8
	ds_bpermute_b32 v11, v11, v9
	s_wait_dscnt 0x0
	v_add_f64_e32 v[8:9], v[8:9], v[10:11]
	v_cndmask_b32_e64 v10, 0, 4, vcc_lo
	v_cmp_gt_u32_e32 vcc_lo, 24, v13
	s_delay_alu instid0(VALU_DEP_2)
	v_add_lshl_u32 v11, v10, v13, 2
	ds_bpermute_b32 v10, v11, v8
	ds_bpermute_b32 v11, v11, v9
	s_wait_dscnt 0x0
	v_add_f64_e32 v[8:9], v[8:9], v[10:11]
	v_cndmask_b32_e64 v10, 0, 8, vcc_lo
	s_delay_alu instid0(VALU_DEP_1)
	v_add_lshl_u32 v11, v10, v13, 2
	ds_bpermute_b32 v10, v11, v8
	ds_bpermute_b32 v11, v11, v9
	s_wait_dscnt 0x0
	v_add_f64_e32 v[8:9], v[8:9], v[10:11]
	ds_bpermute_b32 v10, v2, v8
	ds_bpermute_b32 v11, v2, v9
	s_wait_dscnt 0x0
	v_add_f64_e32 v[10:11], v[8:9], v[10:11]
	s_and_saveexec_b32 s12, s1
; %bb.14:                               ;   in Loop: Header=BB20_8 Depth=1
	ds_store_b64 v14, v[10:11] offset:16384
; %bb.15:                               ;   in Loop: Header=BB20_8 Depth=1
	s_or_b32 exec_lo, exec_lo, s12
	s_mov_b32 s13, 0
	s_mov_b32 s12, 0
	s_wait_dscnt 0x0
	s_barrier_signal -1
	s_barrier_wait -1
                                        ; implicit-def: $vgpr8_vgpr9
	s_and_saveexec_b32 s14, s3
	s_delay_alu instid0(SALU_CYCLE_1)
	s_xor_b32 s14, exec_lo, s14
	s_cbranch_execz .LBB20_17
; %bb.16:                               ;   in Loop: Header=BB20_8 Depth=1
	ds_load_b64 v[8:9], v3 offset:16392
	s_mov_b32 s12, exec_lo
	s_wait_dscnt 0x0
	v_add_f64_e32 v[8:9], v[10:11], v[8:9]
.LBB20_17:                              ;   in Loop: Header=BB20_8 Depth=1
	s_or_b32 exec_lo, exec_lo, s14
	s_delay_alu instid0(SALU_CYCLE_1)
	s_and_b32 vcc_lo, exec_lo, s13
	s_cbranch_vccnz .LBB20_20
.LBB20_18:                              ;   in Loop: Header=BB20_8 Depth=1
	s_delay_alu instid0(VALU_DEP_1)
	v_mov_b64_e32 v[6:7], v[8:9]
	s_and_saveexec_b32 s13, s12
	s_cbranch_execnz .LBB20_21
	s_branch .LBB20_22
.LBB20_19:                              ;   in Loop: Header=BB20_8 Depth=1
	s_mov_b32 s12, 0
                                        ; implicit-def: $vgpr8_vgpr9
	s_cbranch_execz .LBB20_18
.LBB20_20:                              ;   in Loop: Header=BB20_8 Depth=1
	s_and_not1_b32 s12, s12, exec_lo
	s_and_b32 s13, s3, exec_lo
	s_delay_alu instid0(SALU_CYCLE_1) | instskip(NEXT) | instid1(SALU_CYCLE_1)
	s_or_b32 s12, s12, s13
	s_and_saveexec_b32 s13, s12
.LBB20_21:                              ;   in Loop: Header=BB20_8 Depth=1
	ds_store_b64 v3, v[6:7] offset:16384
.LBB20_22:                              ;   in Loop: Header=BB20_8 Depth=1
	s_or_b32 exec_lo, exec_lo, s13
	s_wait_dscnt 0x0
	s_barrier_signal -1
	s_barrier_wait -1
	s_and_saveexec_b32 s12, s2
	s_cbranch_execz .LBB20_7
; %bb.23:                               ;   in Loop: Header=BB20_8 Depth=1
	global_load_b64 v[6:7], v3, s[8:9]
	ds_load_b64 v[8:9], v3 offset:16384
	v_mov_b64_e32 v[10:11], v[0:1]
	v_mov_b32_e32 v15, v12
	s_mov_b32 s13, 0
	s_wait_loadcnt_dscnt 0x0
	v_mul_f64_e64 v[6:7], v[8:9], -v[6:7]
	v_mov_b64_e32 v[8:9], v[4:5]
.LBB20_24:                              ;   Parent Loop BB20_8 Depth=1
                                        ; =>  This Inner Loop Header: Depth=2
	global_load_b64 v[16:17], v[8:9], off
	ds_load_b64 v[18:19], v15
	v_add_nc_u64_e32 v[10:11], 64, v[10:11]
	v_add_nc_u32_e32 v15, 0x200, v15
	s_delay_alu instid0(VALU_DEP_2)
	v_cmp_le_i64_e32 vcc_lo, s[4:5], v[10:11]
	s_or_b32 s13, vcc_lo, s13
	s_wait_loadcnt_dscnt 0x0
	v_fmac_f64_e32 v[16:17], v[6:7], v[18:19]
	global_store_b64 v[8:9], v[16:17], off
	s_wait_xcnt 0x0
	v_add_nc_u64_e32 v[8:9], 0x200, v[8:9]
	s_and_not1_b32 exec_lo, exec_lo, s13
	s_cbranch_execnz .LBB20_24
	s_branch .LBB20_7
.LBB20_25:
	s_endpgm
	.section	.rodata,"a",@progbits
	.p2align	6, 0x0
	.amdhsa_kernel _ZN9rocsolver6v33100L22larf_left_kernel_smallILi64EdlPdEEvT1_S3_T2_lS3_lPKT0_lS4_lS3_l
		.amdhsa_group_segment_fixed_size 16896
		.amdhsa_private_segment_fixed_size 0
		.amdhsa_kernarg_size 96
		.amdhsa_user_sgpr_count 2
		.amdhsa_user_sgpr_dispatch_ptr 0
		.amdhsa_user_sgpr_queue_ptr 0
		.amdhsa_user_sgpr_kernarg_segment_ptr 1
		.amdhsa_user_sgpr_dispatch_id 0
		.amdhsa_user_sgpr_kernarg_preload_length 0
		.amdhsa_user_sgpr_kernarg_preload_offset 0
		.amdhsa_user_sgpr_private_segment_size 0
		.amdhsa_wavefront_size32 1
		.amdhsa_uses_dynamic_stack 0
		.amdhsa_enable_private_segment 0
		.amdhsa_system_sgpr_workgroup_id_x 1
		.amdhsa_system_sgpr_workgroup_id_y 1
		.amdhsa_system_sgpr_workgroup_id_z 0
		.amdhsa_system_sgpr_workgroup_info 0
		.amdhsa_system_vgpr_workitem_id 0
		.amdhsa_next_free_vgpr 113
		.amdhsa_next_free_sgpr 26
		.amdhsa_named_barrier_count 0
		.amdhsa_reserve_vcc 1
		.amdhsa_float_round_mode_32 0
		.amdhsa_float_round_mode_16_64 0
		.amdhsa_float_denorm_mode_32 3
		.amdhsa_float_denorm_mode_16_64 3
		.amdhsa_fp16_overflow 0
		.amdhsa_memory_ordered 1
		.amdhsa_forward_progress 1
		.amdhsa_inst_pref_size 9
		.amdhsa_round_robin_scheduling 0
		.amdhsa_exception_fp_ieee_invalid_op 0
		.amdhsa_exception_fp_denorm_src 0
		.amdhsa_exception_fp_ieee_div_zero 0
		.amdhsa_exception_fp_ieee_overflow 0
		.amdhsa_exception_fp_ieee_underflow 0
		.amdhsa_exception_fp_ieee_inexact 0
		.amdhsa_exception_int_div_zero 0
	.end_amdhsa_kernel
	.section	.text._ZN9rocsolver6v33100L22larf_left_kernel_smallILi64EdlPdEEvT1_S3_T2_lS3_lPKT0_lS4_lS3_l,"axG",@progbits,_ZN9rocsolver6v33100L22larf_left_kernel_smallILi64EdlPdEEvT1_S3_T2_lS3_lPKT0_lS4_lS3_l,comdat
.Lfunc_end20:
	.size	_ZN9rocsolver6v33100L22larf_left_kernel_smallILi64EdlPdEEvT1_S3_T2_lS3_lPKT0_lS4_lS3_l, .Lfunc_end20-_ZN9rocsolver6v33100L22larf_left_kernel_smallILi64EdlPdEEvT1_S3_T2_lS3_lPKT0_lS4_lS3_l
                                        ; -- End function
	.set _ZN9rocsolver6v33100L22larf_left_kernel_smallILi64EdlPdEEvT1_S3_T2_lS3_lPKT0_lS4_lS3_l.num_vgpr, 20
	.set _ZN9rocsolver6v33100L22larf_left_kernel_smallILi64EdlPdEEvT1_S3_T2_lS3_lPKT0_lS4_lS3_l.num_agpr, 0
	.set _ZN9rocsolver6v33100L22larf_left_kernel_smallILi64EdlPdEEvT1_S3_T2_lS3_lPKT0_lS4_lS3_l.numbered_sgpr, 26
	.set _ZN9rocsolver6v33100L22larf_left_kernel_smallILi64EdlPdEEvT1_S3_T2_lS3_lPKT0_lS4_lS3_l.num_named_barrier, 0
	.set _ZN9rocsolver6v33100L22larf_left_kernel_smallILi64EdlPdEEvT1_S3_T2_lS3_lPKT0_lS4_lS3_l.private_seg_size, 0
	.set _ZN9rocsolver6v33100L22larf_left_kernel_smallILi64EdlPdEEvT1_S3_T2_lS3_lPKT0_lS4_lS3_l.uses_vcc, 1
	.set _ZN9rocsolver6v33100L22larf_left_kernel_smallILi64EdlPdEEvT1_S3_T2_lS3_lPKT0_lS4_lS3_l.uses_flat_scratch, 0
	.set _ZN9rocsolver6v33100L22larf_left_kernel_smallILi64EdlPdEEvT1_S3_T2_lS3_lPKT0_lS4_lS3_l.has_dyn_sized_stack, 0
	.set _ZN9rocsolver6v33100L22larf_left_kernel_smallILi64EdlPdEEvT1_S3_T2_lS3_lPKT0_lS4_lS3_l.has_recursion, 0
	.set _ZN9rocsolver6v33100L22larf_left_kernel_smallILi64EdlPdEEvT1_S3_T2_lS3_lPKT0_lS4_lS3_l.has_indirect_call, 0
	.section	.AMDGPU.csdata,"",@progbits
; Kernel info:
; codeLenInByte = 1124
; TotalNumSgprs: 28
; NumVgprs: 20
; ScratchSize: 0
; MemoryBound: 0
; FloatMode: 240
; IeeeMode: 1
; LDSByteSize: 16896 bytes/workgroup (compile time only)
; SGPRBlocks: 0
; VGPRBlocks: 7
; NumSGPRsForWavesPerEU: 28
; NumVGPRsForWavesPerEU: 113
; NamedBarCnt: 0
; Occupancy: 8
; WaveLimiterHint : 0
; COMPUTE_PGM_RSRC2:SCRATCH_EN: 0
; COMPUTE_PGM_RSRC2:USER_SGPR: 2
; COMPUTE_PGM_RSRC2:TRAP_HANDLER: 0
; COMPUTE_PGM_RSRC2:TGID_X_EN: 1
; COMPUTE_PGM_RSRC2:TGID_Y_EN: 1
; COMPUTE_PGM_RSRC2:TGID_Z_EN: 0
; COMPUTE_PGM_RSRC2:TIDIG_COMP_CNT: 0
	.section	.text._ZN9rocsolver6v33100L22larf_left_kernel_smallILi128EdlPdEEvT1_S3_T2_lS3_lPKT0_lS4_lS3_l,"axG",@progbits,_ZN9rocsolver6v33100L22larf_left_kernel_smallILi128EdlPdEEvT1_S3_T2_lS3_lPKT0_lS4_lS3_l,comdat
	.globl	_ZN9rocsolver6v33100L22larf_left_kernel_smallILi128EdlPdEEvT1_S3_T2_lS3_lPKT0_lS4_lS3_l ; -- Begin function _ZN9rocsolver6v33100L22larf_left_kernel_smallILi128EdlPdEEvT1_S3_T2_lS3_lPKT0_lS4_lS3_l
	.p2align	8
	.type	_ZN9rocsolver6v33100L22larf_left_kernel_smallILi128EdlPdEEvT1_S3_T2_lS3_lPKT0_lS4_lS3_l,@function
_ZN9rocsolver6v33100L22larf_left_kernel_smallILi128EdlPdEEvT1_S3_T2_lS3_lPKT0_lS4_lS3_l: ; @_ZN9rocsolver6v33100L22larf_left_kernel_smallILi128EdlPdEEvT1_S3_T2_lS3_lPKT0_lS4_lS3_l
; %bb.0:
	s_load_b512 s[4:19], s[0:1], 0x0
	s_mov_b64 s[20:21], 0
	s_wait_kmcnt 0x0
	v_cmp_gt_i64_e64 s2, s[12:13], 0
	s_and_b32 vcc_lo, exec_lo, s2
	s_cbranch_vccnz .LBB21_2
; %bb.1:
	s_sub_nc_u64 s[2:3], 1, s[4:5]
	s_delay_alu instid0(SALU_CYCLE_1)
	s_mul_u64 s[20:21], s[12:13], s[2:3]
.LBB21_2:
	s_bfe_u32 s2, ttmp6, 0x4000c
	v_dual_mov_b32 v1, 0 :: v_dual_lshlrev_b32 v12, 3, v0
	s_add_co_i32 s2, s2, 1
	s_and_b32 s3, ttmp6, 15
	s_mul_i32 s22, ttmp9, s2
	s_delay_alu instid0(VALU_DEP_1)
	v_cmp_gt_i64_e64 s2, s[4:5], v[0:1]
	s_add_co_i32 s22, s3, s22
	s_getreg_b32 s3, hwreg(HW_REG_IB_STS2, 6, 4)
	s_mov_b32 s23, 0
	s_cmp_eq_u32 s3, 0
	s_cselect_b32 s22, ttmp9, s22
	s_and_saveexec_b32 s24, s2
	s_cbranch_execz .LBB21_5
; %bb.3:
	v_mul_u64_e32 v[2:3], s[12:13], v[0:1]
	s_lshl_b64 s[10:11], s[10:11], 3
	s_mul_u64 s[14:15], s[14:15], s[22:23]
	s_lshl_b64 s[20:21], s[20:21], 3
	s_add_nc_u64 s[8:9], s[8:9], s[10:11]
	s_lshl_b64 s[10:11], s[14:15], 3
	s_add_nc_u64 s[8:9], s[8:9], s[20:21]
	v_mov_b64_e32 v[4:5], v[0:1]
	s_add_nc_u64 s[8:9], s[8:9], s[10:11]
	v_lshlrev_b32_e32 v6, 3, v0
	s_mov_b32 s10, s23
	s_delay_alu instid0(VALU_DEP_3)
	v_lshl_add_u64 v[2:3], v[2:3], 3, s[8:9]
	s_lshl_b64 s[8:9], s[12:13], 10
.LBB21_4:                               ; =>This Inner Loop Header: Depth=1
	global_load_b64 v[8:9], v[2:3], off
	v_add_nc_u64_e32 v[4:5], 0x80, v[4:5]
	s_wait_xcnt 0x0
	v_add_nc_u64_e32 v[2:3], s[8:9], v[2:3]
	s_delay_alu instid0(VALU_DEP_2)
	v_cmp_le_i64_e32 vcc_lo, s[4:5], v[4:5]
	s_or_b32 s10, vcc_lo, s10
	s_wait_loadcnt 0x0
	ds_store_b64 v6, v[8:9]
	v_add_nc_u32_e32 v6, 0x400, v6
	s_and_not1_b32 exec_lo, exec_lo, s10
	s_cbranch_execnz .LBB21_4
.LBB21_5:
	s_or_b32 exec_lo, exec_lo, s24
	s_bfe_u32 s8, ttmp6, 0x40010
	s_bfe_u32 s9, ttmp6, 0x40004
	s_add_co_i32 s8, s8, 1
	s_mov_b32 s21, 0
	s_mul_i32 s8, ttmp7, s8
	s_wait_dscnt 0x0
	s_add_co_i32 s9, s9, s8
	s_cmp_eq_u32 s3, 0
	s_barrier_signal -1
	s_cselect_b32 s20, ttmp7, s9
	s_barrier_wait -1
	v_cmp_le_i64_e64 s3, s[6:7], s[20:21]
	s_and_b32 vcc_lo, exec_lo, s3
	s_cbranch_vccnz .LBB21_25
; %bb.6:
	s_load_b256 s[8:15], s[0:1], 0x40
	s_mul_u64 s[18:19], s[18:19], s[22:23]
	v_dual_lshlrev_b32 v2, 3, v0 :: v_dual_bitop2_b32 v4, 31, v0 bitop3:0x40
	s_lshl_b64 s[24:25], s[18:19], 3
	s_cmp_gt_i32 s4, 1
	v_dual_mov_b32 v3, 0 :: v_dual_lshrrev_b32 v14, 2, v0
	s_cselect_b32 s18, -1, 0
	v_mbcnt_lo_u32_b32 v13, -1, 0
	s_wait_xcnt 0x0
	v_cmp_eq_u32_e64 s1, 0, v4
	v_cmp_gt_i32_e64 s0, s4, v0
	v_cmp_eq_u32_e64 s3, 0, v0
	v_mov_b32_e32 v15, 0x4008
	s_wait_kmcnt 0x0
	s_mul_u64 s[14:15], s[14:15], s[22:23]
	s_mul_u64 s[22:23], s[12:13], s[20:21]
	s_lshl_b64 s[14:15], s[14:15], 3
	s_lshl_b64 s[22:23], s[22:23], 3
	;; [unrolled: 1-line block ×3, first 2 shown]
	s_add_nc_u64 s[14:15], s[14:15], s[22:23]
	s_delay_alu instid0(SALU_CYCLE_1) | instskip(NEXT) | instid1(SALU_CYCLE_1)
	s_add_nc_u64 s[10:11], s[14:15], s[10:11]
	s_add_nc_u64 s[8:9], s[8:9], s[10:11]
	s_lshl_b64 s[10:11], s[12:13], 9
	v_add_nc_u64_e32 v[4:5], s[8:9], v[2:3]
	v_lshl_or_b32 v2, v13, 2, 64
	s_add_nc_u64 s[8:9], s[16:17], s[24:25]
	s_branch .LBB21_8
.LBB21_7:                               ;   in Loop: Header=BB21_8 Depth=1
	s_or_b32 exec_lo, exec_lo, s12
	s_add_nc_u64 s[20:21], s[20:21], 64
	v_add_nc_u64_e32 v[4:5], s[10:11], v[4:5]
	v_cmp_ge_i64_e64 s12, s[20:21], s[6:7]
	s_and_b32 vcc_lo, exec_lo, s12
	s_cbranch_vccnz .LBB21_25
.LBB21_8:                               ; =>This Loop Header: Depth=1
                                        ;     Child Loop BB21_10 Depth 2
                                        ;     Child Loop BB21_24 Depth 2
	v_mov_b64_e32 v[6:7], 0
	s_and_saveexec_b32 s12, s0
	s_cbranch_execz .LBB21_12
; %bb.9:                                ;   in Loop: Header=BB21_8 Depth=1
	v_mov_b64_e32 v[6:7], 0
	v_mov_b64_e32 v[8:9], v[4:5]
	v_dual_mov_b32 v10, v12 :: v_dual_mov_b32 v11, v0
	s_mov_b32 s13, 0
.LBB21_10:                              ;   Parent Loop BB21_8 Depth=1
                                        ; =>  This Inner Loop Header: Depth=2
	global_load_b64 v[16:17], v[8:9], off
	ds_load_b64 v[18:19], v10
	v_add_nc_u32_e32 v11, 0x80, v11
	s_wait_xcnt 0x0
	v_add_nc_u64_e32 v[8:9], 0x400, v[8:9]
	v_add_nc_u32_e32 v10, 0x400, v10
	s_delay_alu instid0(VALU_DEP_3)
	v_cmp_le_i32_e32 vcc_lo, s4, v11
	s_or_b32 s13, vcc_lo, s13
	s_wait_loadcnt_dscnt 0x0
	v_fmac_f64_e32 v[6:7], v[18:19], v[16:17]
	s_and_not1_b32 exec_lo, exec_lo, s13
	s_cbranch_execnz .LBB21_10
; %bb.11:                               ;   in Loop: Header=BB21_8 Depth=1
	s_or_b32 exec_lo, exec_lo, s13
.LBB21_12:                              ;   in Loop: Header=BB21_8 Depth=1
	s_delay_alu instid0(SALU_CYCLE_1) | instskip(NEXT) | instid1(SALU_CYCLE_1)
	s_or_b32 exec_lo, exec_lo, s12
	s_and_b32 vcc_lo, exec_lo, s18
	s_cbranch_vccz .LBB21_19
; %bb.13:                               ;   in Loop: Header=BB21_8 Depth=1
	v_cmp_ne_u32_e32 vcc_lo, 31, v13
	v_add_co_ci_u32_e64 v8, null, 0, v13, vcc_lo
	v_cmp_gt_u32_e32 vcc_lo, 30, v13
	s_delay_alu instid0(VALU_DEP_2)
	v_lshlrev_b32_e32 v9, 2, v8
	v_cndmask_b32_e64 v10, 0, 2, vcc_lo
	v_cmp_gt_u32_e32 vcc_lo, 28, v13
	ds_bpermute_b32 v8, v9, v6
	ds_bpermute_b32 v9, v9, v7
	v_add_lshl_u32 v11, v10, v13, 2
	s_wait_dscnt 0x0
	v_add_f64_e32 v[8:9], v[6:7], v[8:9]
	ds_bpermute_b32 v10, v11, v8
	ds_bpermute_b32 v11, v11, v9
	s_wait_dscnt 0x0
	v_add_f64_e32 v[8:9], v[8:9], v[10:11]
	v_cndmask_b32_e64 v10, 0, 4, vcc_lo
	v_cmp_gt_u32_e32 vcc_lo, 24, v13
	s_delay_alu instid0(VALU_DEP_2)
	v_add_lshl_u32 v11, v10, v13, 2
	ds_bpermute_b32 v10, v11, v8
	ds_bpermute_b32 v11, v11, v9
	s_wait_dscnt 0x0
	v_add_f64_e32 v[8:9], v[8:9], v[10:11]
	v_cndmask_b32_e64 v10, 0, 8, vcc_lo
	s_delay_alu instid0(VALU_DEP_1)
	v_add_lshl_u32 v11, v10, v13, 2
	ds_bpermute_b32 v10, v11, v8
	ds_bpermute_b32 v11, v11, v9
	s_wait_dscnt 0x0
	v_add_f64_e32 v[8:9], v[8:9], v[10:11]
	ds_bpermute_b32 v10, v2, v8
	ds_bpermute_b32 v11, v2, v9
	s_wait_dscnt 0x0
	v_add_f64_e32 v[8:9], v[8:9], v[10:11]
	s_and_saveexec_b32 s12, s1
; %bb.14:                               ;   in Loop: Header=BB21_8 Depth=1
	ds_store_b64 v14, v[8:9] offset:16384
; %bb.15:                               ;   in Loop: Header=BB21_8 Depth=1
	s_or_b32 exec_lo, exec_lo, s12
	s_mov_b32 s13, 0
	s_mov_b32 s12, 0
	s_wait_dscnt 0x0
	s_barrier_signal -1
	s_barrier_wait -1
                                        ; implicit-def: $vgpr10_vgpr11
	s_and_saveexec_b32 s14, s3
	s_delay_alu instid0(SALU_CYCLE_1)
	s_xor_b32 s14, exec_lo, s14
	s_cbranch_execz .LBB21_17
; %bb.16:                               ;   in Loop: Header=BB21_8 Depth=1
	ds_load_2addr_b64 v[16:19], v15 offset1:1
	ds_load_b64 v[10:11], v3 offset:16408
	s_mov_b32 s12, exec_lo
	s_wait_dscnt 0x1
	v_add_f64_e32 v[8:9], v[8:9], v[16:17]
	s_delay_alu instid0(VALU_DEP_1) | instskip(SKIP_1) | instid1(VALU_DEP_1)
	v_add_f64_e32 v[8:9], v[8:9], v[18:19]
	s_wait_dscnt 0x0
	v_add_f64_e32 v[10:11], v[8:9], v[10:11]
.LBB21_17:                              ;   in Loop: Header=BB21_8 Depth=1
	s_or_b32 exec_lo, exec_lo, s14
	s_delay_alu instid0(SALU_CYCLE_1)
	s_and_b32 vcc_lo, exec_lo, s13
	s_cbranch_vccnz .LBB21_20
.LBB21_18:                              ;   in Loop: Header=BB21_8 Depth=1
	s_delay_alu instid0(VALU_DEP_1)
	v_mov_b64_e32 v[6:7], v[10:11]
	s_and_saveexec_b32 s13, s12
	s_cbranch_execnz .LBB21_21
	s_branch .LBB21_22
.LBB21_19:                              ;   in Loop: Header=BB21_8 Depth=1
	s_mov_b32 s12, 0
                                        ; implicit-def: $vgpr10_vgpr11
	s_cbranch_execz .LBB21_18
.LBB21_20:                              ;   in Loop: Header=BB21_8 Depth=1
	s_and_not1_b32 s12, s12, exec_lo
	s_and_b32 s13, s3, exec_lo
	s_delay_alu instid0(SALU_CYCLE_1) | instskip(NEXT) | instid1(SALU_CYCLE_1)
	s_or_b32 s12, s12, s13
	s_and_saveexec_b32 s13, s12
.LBB21_21:                              ;   in Loop: Header=BB21_8 Depth=1
	ds_store_b64 v3, v[6:7] offset:16384
.LBB21_22:                              ;   in Loop: Header=BB21_8 Depth=1
	s_or_b32 exec_lo, exec_lo, s13
	s_wait_dscnt 0x0
	s_barrier_signal -1
	s_barrier_wait -1
	s_and_saveexec_b32 s12, s2
	s_cbranch_execz .LBB21_7
; %bb.23:                               ;   in Loop: Header=BB21_8 Depth=1
	global_load_b64 v[6:7], v3, s[8:9]
	ds_load_b64 v[8:9], v3 offset:16384
	v_mov_b64_e32 v[10:11], v[0:1]
	v_mov_b32_e32 v16, v12
	s_mov_b32 s13, 0
	s_wait_loadcnt_dscnt 0x0
	v_mul_f64_e64 v[6:7], v[8:9], -v[6:7]
	v_mov_b64_e32 v[8:9], v[4:5]
.LBB21_24:                              ;   Parent Loop BB21_8 Depth=1
                                        ; =>  This Inner Loop Header: Depth=2
	global_load_b64 v[18:19], v[8:9], off
	ds_load_b64 v[20:21], v16
	v_add_nc_u64_e32 v[10:11], 0x80, v[10:11]
	v_add_nc_u32_e32 v16, 0x400, v16
	s_delay_alu instid0(VALU_DEP_2)
	v_cmp_le_i64_e32 vcc_lo, s[4:5], v[10:11]
	s_or_b32 s13, vcc_lo, s13
	s_wait_loadcnt_dscnt 0x0
	v_fmac_f64_e32 v[18:19], v[6:7], v[20:21]
	global_store_b64 v[8:9], v[18:19], off
	s_wait_xcnt 0x0
	v_add_nc_u64_e32 v[8:9], 0x400, v[8:9]
	s_and_not1_b32 exec_lo, exec_lo, s13
	s_cbranch_execnz .LBB21_24
	s_branch .LBB21_7
.LBB21_25:
	s_endpgm
	.section	.rodata,"a",@progbits
	.p2align	6, 0x0
	.amdhsa_kernel _ZN9rocsolver6v33100L22larf_left_kernel_smallILi128EdlPdEEvT1_S3_T2_lS3_lPKT0_lS4_lS3_l
		.amdhsa_group_segment_fixed_size 17408
		.amdhsa_private_segment_fixed_size 0
		.amdhsa_kernarg_size 96
		.amdhsa_user_sgpr_count 2
		.amdhsa_user_sgpr_dispatch_ptr 0
		.amdhsa_user_sgpr_queue_ptr 0
		.amdhsa_user_sgpr_kernarg_segment_ptr 1
		.amdhsa_user_sgpr_dispatch_id 0
		.amdhsa_user_sgpr_kernarg_preload_length 0
		.amdhsa_user_sgpr_kernarg_preload_offset 0
		.amdhsa_user_sgpr_private_segment_size 0
		.amdhsa_wavefront_size32 1
		.amdhsa_uses_dynamic_stack 0
		.amdhsa_enable_private_segment 0
		.amdhsa_system_sgpr_workgroup_id_x 1
		.amdhsa_system_sgpr_workgroup_id_y 1
		.amdhsa_system_sgpr_workgroup_id_z 0
		.amdhsa_system_sgpr_workgroup_info 0
		.amdhsa_system_vgpr_workitem_id 0
		.amdhsa_next_free_vgpr 22
		.amdhsa_next_free_sgpr 26
		.amdhsa_named_barrier_count 0
		.amdhsa_reserve_vcc 1
		.amdhsa_float_round_mode_32 0
		.amdhsa_float_round_mode_16_64 0
		.amdhsa_float_denorm_mode_32 3
		.amdhsa_float_denorm_mode_16_64 3
		.amdhsa_fp16_overflow 0
		.amdhsa_memory_ordered 1
		.amdhsa_forward_progress 1
		.amdhsa_inst_pref_size 10
		.amdhsa_round_robin_scheduling 0
		.amdhsa_exception_fp_ieee_invalid_op 0
		.amdhsa_exception_fp_denorm_src 0
		.amdhsa_exception_fp_ieee_div_zero 0
		.amdhsa_exception_fp_ieee_overflow 0
		.amdhsa_exception_fp_ieee_underflow 0
		.amdhsa_exception_fp_ieee_inexact 0
		.amdhsa_exception_int_div_zero 0
	.end_amdhsa_kernel
	.section	.text._ZN9rocsolver6v33100L22larf_left_kernel_smallILi128EdlPdEEvT1_S3_T2_lS3_lPKT0_lS4_lS3_l,"axG",@progbits,_ZN9rocsolver6v33100L22larf_left_kernel_smallILi128EdlPdEEvT1_S3_T2_lS3_lPKT0_lS4_lS3_l,comdat
.Lfunc_end21:
	.size	_ZN9rocsolver6v33100L22larf_left_kernel_smallILi128EdlPdEEvT1_S3_T2_lS3_lPKT0_lS4_lS3_l, .Lfunc_end21-_ZN9rocsolver6v33100L22larf_left_kernel_smallILi128EdlPdEEvT1_S3_T2_lS3_lPKT0_lS4_lS3_l
                                        ; -- End function
	.set _ZN9rocsolver6v33100L22larf_left_kernel_smallILi128EdlPdEEvT1_S3_T2_lS3_lPKT0_lS4_lS3_l.num_vgpr, 22
	.set _ZN9rocsolver6v33100L22larf_left_kernel_smallILi128EdlPdEEvT1_S3_T2_lS3_lPKT0_lS4_lS3_l.num_agpr, 0
	.set _ZN9rocsolver6v33100L22larf_left_kernel_smallILi128EdlPdEEvT1_S3_T2_lS3_lPKT0_lS4_lS3_l.numbered_sgpr, 26
	.set _ZN9rocsolver6v33100L22larf_left_kernel_smallILi128EdlPdEEvT1_S3_T2_lS3_lPKT0_lS4_lS3_l.num_named_barrier, 0
	.set _ZN9rocsolver6v33100L22larf_left_kernel_smallILi128EdlPdEEvT1_S3_T2_lS3_lPKT0_lS4_lS3_l.private_seg_size, 0
	.set _ZN9rocsolver6v33100L22larf_left_kernel_smallILi128EdlPdEEvT1_S3_T2_lS3_lPKT0_lS4_lS3_l.uses_vcc, 1
	.set _ZN9rocsolver6v33100L22larf_left_kernel_smallILi128EdlPdEEvT1_S3_T2_lS3_lPKT0_lS4_lS3_l.uses_flat_scratch, 0
	.set _ZN9rocsolver6v33100L22larf_left_kernel_smallILi128EdlPdEEvT1_S3_T2_lS3_lPKT0_lS4_lS3_l.has_dyn_sized_stack, 0
	.set _ZN9rocsolver6v33100L22larf_left_kernel_smallILi128EdlPdEEvT1_S3_T2_lS3_lPKT0_lS4_lS3_l.has_recursion, 0
	.set _ZN9rocsolver6v33100L22larf_left_kernel_smallILi128EdlPdEEvT1_S3_T2_lS3_lPKT0_lS4_lS3_l.has_indirect_call, 0
	.section	.AMDGPU.csdata,"",@progbits
; Kernel info:
; codeLenInByte = 1164
; TotalNumSgprs: 28
; NumVgprs: 22
; ScratchSize: 0
; MemoryBound: 0
; FloatMode: 240
; IeeeMode: 1
; LDSByteSize: 17408 bytes/workgroup (compile time only)
; SGPRBlocks: 0
; VGPRBlocks: 1
; NumSGPRsForWavesPerEU: 28
; NumVGPRsForWavesPerEU: 22
; NamedBarCnt: 0
; Occupancy: 16
; WaveLimiterHint : 0
; COMPUTE_PGM_RSRC2:SCRATCH_EN: 0
; COMPUTE_PGM_RSRC2:USER_SGPR: 2
; COMPUTE_PGM_RSRC2:TRAP_HANDLER: 0
; COMPUTE_PGM_RSRC2:TGID_X_EN: 1
; COMPUTE_PGM_RSRC2:TGID_Y_EN: 1
; COMPUTE_PGM_RSRC2:TGID_Z_EN: 0
; COMPUTE_PGM_RSRC2:TIDIG_COMP_CNT: 0
	.section	.text._ZN9rocsolver6v33100L22larf_left_kernel_smallILi256EdlPdEEvT1_S3_T2_lS3_lPKT0_lS4_lS3_l,"axG",@progbits,_ZN9rocsolver6v33100L22larf_left_kernel_smallILi256EdlPdEEvT1_S3_T2_lS3_lPKT0_lS4_lS3_l,comdat
	.globl	_ZN9rocsolver6v33100L22larf_left_kernel_smallILi256EdlPdEEvT1_S3_T2_lS3_lPKT0_lS4_lS3_l ; -- Begin function _ZN9rocsolver6v33100L22larf_left_kernel_smallILi256EdlPdEEvT1_S3_T2_lS3_lPKT0_lS4_lS3_l
	.p2align	8
	.type	_ZN9rocsolver6v33100L22larf_left_kernel_smallILi256EdlPdEEvT1_S3_T2_lS3_lPKT0_lS4_lS3_l,@function
_ZN9rocsolver6v33100L22larf_left_kernel_smallILi256EdlPdEEvT1_S3_T2_lS3_lPKT0_lS4_lS3_l: ; @_ZN9rocsolver6v33100L22larf_left_kernel_smallILi256EdlPdEEvT1_S3_T2_lS3_lPKT0_lS4_lS3_l
; %bb.0:
	s_load_b512 s[4:19], s[0:1], 0x0
	s_mov_b64 s[20:21], 0
	s_wait_kmcnt 0x0
	v_cmp_gt_i64_e64 s2, s[12:13], 0
	s_and_b32 vcc_lo, exec_lo, s2
	s_cbranch_vccnz .LBB22_2
; %bb.1:
	s_sub_nc_u64 s[2:3], 1, s[4:5]
	s_delay_alu instid0(SALU_CYCLE_1)
	s_mul_u64 s[20:21], s[12:13], s[2:3]
.LBB22_2:
	s_bfe_u32 s2, ttmp6, 0x4000c
	v_dual_mov_b32 v1, 0 :: v_dual_lshlrev_b32 v12, 3, v0
	s_add_co_i32 s2, s2, 1
	s_and_b32 s3, ttmp6, 15
	s_mul_i32 s22, ttmp9, s2
	s_delay_alu instid0(VALU_DEP_1)
	v_cmp_gt_i64_e64 s2, s[4:5], v[0:1]
	s_add_co_i32 s22, s3, s22
	s_getreg_b32 s3, hwreg(HW_REG_IB_STS2, 6, 4)
	s_mov_b32 s23, 0
	s_cmp_eq_u32 s3, 0
	s_cselect_b32 s22, ttmp9, s22
	s_and_saveexec_b32 s24, s2
	s_cbranch_execz .LBB22_5
; %bb.3:
	v_mul_u64_e32 v[2:3], s[12:13], v[0:1]
	s_lshl_b64 s[10:11], s[10:11], 3
	s_mul_u64 s[14:15], s[14:15], s[22:23]
	s_lshl_b64 s[20:21], s[20:21], 3
	s_add_nc_u64 s[8:9], s[8:9], s[10:11]
	s_lshl_b64 s[10:11], s[14:15], 3
	s_add_nc_u64 s[8:9], s[8:9], s[20:21]
	v_mov_b64_e32 v[4:5], v[0:1]
	s_add_nc_u64 s[8:9], s[8:9], s[10:11]
	v_lshlrev_b32_e32 v6, 3, v0
	s_mov_b32 s10, s23
	s_delay_alu instid0(VALU_DEP_3)
	v_lshl_add_u64 v[2:3], v[2:3], 3, s[8:9]
	s_lshl_b64 s[8:9], s[12:13], 11
.LBB22_4:                               ; =>This Inner Loop Header: Depth=1
	global_load_b64 v[8:9], v[2:3], off
	v_add_nc_u64_e32 v[4:5], 0x100, v[4:5]
	s_wait_xcnt 0x0
	v_add_nc_u64_e32 v[2:3], s[8:9], v[2:3]
	s_delay_alu instid0(VALU_DEP_2)
	v_cmp_le_i64_e32 vcc_lo, s[4:5], v[4:5]
	s_or_b32 s10, vcc_lo, s10
	s_wait_loadcnt 0x0
	ds_store_b64 v6, v[8:9]
	v_add_nc_u32_e32 v6, 0x800, v6
	s_and_not1_b32 exec_lo, exec_lo, s10
	s_cbranch_execnz .LBB22_4
.LBB22_5:
	s_or_b32 exec_lo, exec_lo, s24
	s_bfe_u32 s8, ttmp6, 0x40010
	s_bfe_u32 s9, ttmp6, 0x40004
	s_add_co_i32 s8, s8, 1
	s_mov_b32 s21, 0
	s_mul_i32 s8, ttmp7, s8
	s_wait_dscnt 0x0
	s_add_co_i32 s9, s9, s8
	s_cmp_eq_u32 s3, 0
	s_barrier_signal -1
	s_cselect_b32 s20, ttmp7, s9
	s_barrier_wait -1
	v_cmp_le_i64_e64 s3, s[6:7], s[20:21]
	s_and_b32 vcc_lo, exec_lo, s3
	s_cbranch_vccnz .LBB22_25
; %bb.6:
	s_load_b256 s[8:15], s[0:1], 0x40
	s_mul_u64 s[18:19], s[18:19], s[22:23]
	v_dual_lshrrev_b32 v13, 2, v0 :: v_dual_bitop2_b32 v4, 31, v0 bitop3:0x40
	s_lshl_b64 s[24:25], s[18:19], 3
	s_cmp_gt_i32 s4, 1
	v_dual_mov_b32 v3, 0 :: v_dual_lshlrev_b32 v2, 3, v0
	s_cselect_b32 s18, -1, 0
	v_mbcnt_lo_u32_b32 v14, -1, 0
	v_cmp_eq_u32_e64 s3, 0, v4
	s_wait_xcnt 0x0
	v_cmp_gt_i32_e64 s0, s4, v0
	v_cmp_eq_u32_e64 s1, 0, v0
	v_mov_b32_e32 v16, 0x4018
	v_lshl_or_b32 v15, v14, 2, 64
	v_mov_b32_e32 v17, 0x4028
	s_wait_kmcnt 0x0
	s_mul_u64 s[14:15], s[14:15], s[22:23]
	s_mul_u64 s[22:23], s[12:13], s[20:21]
	s_lshl_b64 s[14:15], s[14:15], 3
	s_lshl_b64 s[22:23], s[22:23], 3
	;; [unrolled: 1-line block ×3, first 2 shown]
	s_add_nc_u64 s[14:15], s[14:15], s[22:23]
	s_delay_alu instid0(SALU_CYCLE_1) | instskip(NEXT) | instid1(SALU_CYCLE_1)
	s_add_nc_u64 s[10:11], s[14:15], s[10:11]
	s_add_nc_u64 s[8:9], s[8:9], s[10:11]
	s_lshl_b64 s[10:11], s[12:13], 9
	v_add_nc_u64_e32 v[4:5], s[8:9], v[2:3]
	v_mov_b32_e32 v2, 0x4008
	s_add_nc_u64 s[8:9], s[16:17], s[24:25]
	s_branch .LBB22_8
.LBB22_7:                               ;   in Loop: Header=BB22_8 Depth=1
	s_or_b32 exec_lo, exec_lo, s12
	s_add_nc_u64 s[20:21], s[20:21], 64
	v_add_nc_u64_e32 v[4:5], s[10:11], v[4:5]
	v_cmp_ge_i64_e64 s12, s[20:21], s[6:7]
	s_and_b32 vcc_lo, exec_lo, s12
	s_cbranch_vccnz .LBB22_25
.LBB22_8:                               ; =>This Loop Header: Depth=1
                                        ;     Child Loop BB22_10 Depth 2
                                        ;     Child Loop BB22_24 Depth 2
	v_mov_b64_e32 v[6:7], 0
	s_and_saveexec_b32 s12, s0
	s_cbranch_execz .LBB22_12
; %bb.9:                                ;   in Loop: Header=BB22_8 Depth=1
	v_mov_b64_e32 v[6:7], 0
	v_mov_b64_e32 v[8:9], v[4:5]
	v_dual_mov_b32 v10, v12 :: v_dual_mov_b32 v11, v0
	s_mov_b32 s13, 0
.LBB22_10:                              ;   Parent Loop BB22_8 Depth=1
                                        ; =>  This Inner Loop Header: Depth=2
	global_load_b64 v[18:19], v[8:9], off
	ds_load_b64 v[20:21], v10
	v_add_nc_u32_e32 v11, 0x100, v11
	s_wait_xcnt 0x0
	v_add_nc_u64_e32 v[8:9], 0x800, v[8:9]
	v_add_nc_u32_e32 v10, 0x800, v10
	s_delay_alu instid0(VALU_DEP_3)
	v_cmp_le_i32_e32 vcc_lo, s4, v11
	s_or_b32 s13, vcc_lo, s13
	s_wait_loadcnt_dscnt 0x0
	v_fmac_f64_e32 v[6:7], v[20:21], v[18:19]
	s_and_not1_b32 exec_lo, exec_lo, s13
	s_cbranch_execnz .LBB22_10
; %bb.11:                               ;   in Loop: Header=BB22_8 Depth=1
	s_or_b32 exec_lo, exec_lo, s13
.LBB22_12:                              ;   in Loop: Header=BB22_8 Depth=1
	s_delay_alu instid0(SALU_CYCLE_1) | instskip(NEXT) | instid1(SALU_CYCLE_1)
	s_or_b32 exec_lo, exec_lo, s12
	s_and_b32 vcc_lo, exec_lo, s18
	s_cbranch_vccz .LBB22_19
; %bb.13:                               ;   in Loop: Header=BB22_8 Depth=1
	v_cmp_ne_u32_e32 vcc_lo, 31, v14
	v_add_co_ci_u32_e64 v8, null, 0, v14, vcc_lo
	v_cmp_gt_u32_e32 vcc_lo, 30, v14
	s_delay_alu instid0(VALU_DEP_2)
	v_lshlrev_b32_e32 v9, 2, v8
	v_cndmask_b32_e64 v10, 0, 2, vcc_lo
	v_cmp_gt_u32_e32 vcc_lo, 28, v14
	ds_bpermute_b32 v8, v9, v6
	ds_bpermute_b32 v9, v9, v7
	v_add_lshl_u32 v11, v10, v14, 2
	s_wait_dscnt 0x0
	v_add_f64_e32 v[8:9], v[6:7], v[8:9]
	ds_bpermute_b32 v10, v11, v8
	ds_bpermute_b32 v11, v11, v9
	s_wait_dscnt 0x0
	v_add_f64_e32 v[8:9], v[8:9], v[10:11]
	v_cndmask_b32_e64 v10, 0, 4, vcc_lo
	v_cmp_gt_u32_e32 vcc_lo, 24, v14
	s_delay_alu instid0(VALU_DEP_2)
	v_add_lshl_u32 v11, v10, v14, 2
	ds_bpermute_b32 v10, v11, v8
	ds_bpermute_b32 v11, v11, v9
	s_wait_dscnt 0x0
	v_add_f64_e32 v[8:9], v[8:9], v[10:11]
	v_cndmask_b32_e64 v10, 0, 8, vcc_lo
	s_delay_alu instid0(VALU_DEP_1)
	v_add_lshl_u32 v11, v10, v14, 2
	ds_bpermute_b32 v10, v11, v8
	ds_bpermute_b32 v11, v11, v9
	s_wait_dscnt 0x0
	v_add_f64_e32 v[8:9], v[8:9], v[10:11]
	ds_bpermute_b32 v10, v15, v8
	ds_bpermute_b32 v11, v15, v9
	s_wait_dscnt 0x0
	v_add_f64_e32 v[8:9], v[8:9], v[10:11]
	s_and_saveexec_b32 s12, s3
; %bb.14:                               ;   in Loop: Header=BB22_8 Depth=1
	ds_store_b64 v13, v[8:9] offset:16384
; %bb.15:                               ;   in Loop: Header=BB22_8 Depth=1
	s_or_b32 exec_lo, exec_lo, s12
	s_mov_b32 s13, 0
	s_mov_b32 s12, 0
	s_wait_dscnt 0x0
	s_barrier_signal -1
	s_barrier_wait -1
                                        ; implicit-def: $vgpr10_vgpr11
	s_and_saveexec_b32 s14, s1
	s_delay_alu instid0(SALU_CYCLE_1)
	s_xor_b32 s14, exec_lo, s14
	s_cbranch_execz .LBB22_17
; %bb.16:                               ;   in Loop: Header=BB22_8 Depth=1
	ds_load_2addr_b64 v[18:21], v2 offset1:1
	ds_load_2addr_b64 v[22:25], v16 offset1:1
	s_mov_b32 s12, exec_lo
	s_wait_dscnt 0x1
	v_add_f64_e32 v[8:9], v[8:9], v[18:19]
	s_delay_alu instid0(VALU_DEP_1) | instskip(SKIP_1) | instid1(VALU_DEP_1)
	v_add_f64_e32 v[8:9], v[8:9], v[20:21]
	s_wait_dscnt 0x0
	v_add_f64_e32 v[8:9], v[8:9], v[22:23]
	s_delay_alu instid0(VALU_DEP_1) | instskip(SKIP_4) | instid1(VALU_DEP_1)
	v_add_f64_e32 v[18:19], v[8:9], v[24:25]
	ds_load_2addr_b64 v[8:11], v17 offset1:1
	ds_load_b64 v[20:21], v3 offset:16440
	s_wait_dscnt 0x1
	v_add_f64_e32 v[8:9], v[18:19], v[8:9]
	v_add_f64_e32 v[8:9], v[8:9], v[10:11]
	s_wait_dscnt 0x0
	s_delay_alu instid0(VALU_DEP_1)
	v_add_f64_e32 v[10:11], v[8:9], v[20:21]
.LBB22_17:                              ;   in Loop: Header=BB22_8 Depth=1
	s_or_b32 exec_lo, exec_lo, s14
	s_delay_alu instid0(SALU_CYCLE_1)
	s_and_b32 vcc_lo, exec_lo, s13
	s_cbranch_vccnz .LBB22_20
.LBB22_18:                              ;   in Loop: Header=BB22_8 Depth=1
	s_delay_alu instid0(VALU_DEP_1)
	v_mov_b64_e32 v[6:7], v[10:11]
	s_and_saveexec_b32 s13, s12
	s_cbranch_execnz .LBB22_21
	s_branch .LBB22_22
.LBB22_19:                              ;   in Loop: Header=BB22_8 Depth=1
	s_mov_b32 s12, 0
                                        ; implicit-def: $vgpr10_vgpr11
	s_cbranch_execz .LBB22_18
.LBB22_20:                              ;   in Loop: Header=BB22_8 Depth=1
	s_and_not1_b32 s12, s12, exec_lo
	s_and_b32 s13, s1, exec_lo
	s_delay_alu instid0(SALU_CYCLE_1) | instskip(NEXT) | instid1(SALU_CYCLE_1)
	s_or_b32 s12, s12, s13
	s_and_saveexec_b32 s13, s12
.LBB22_21:                              ;   in Loop: Header=BB22_8 Depth=1
	ds_store_b64 v3, v[6:7] offset:16384
.LBB22_22:                              ;   in Loop: Header=BB22_8 Depth=1
	s_or_b32 exec_lo, exec_lo, s13
	s_wait_dscnt 0x0
	s_barrier_signal -1
	s_barrier_wait -1
	s_and_saveexec_b32 s12, s2
	s_cbranch_execz .LBB22_7
; %bb.23:                               ;   in Loop: Header=BB22_8 Depth=1
	global_load_b64 v[6:7], v3, s[8:9]
	ds_load_b64 v[8:9], v3 offset:16384
	v_mov_b64_e32 v[10:11], v[0:1]
	v_mov_b32_e32 v18, v12
	s_mov_b32 s13, 0
	s_wait_loadcnt_dscnt 0x0
	v_mul_f64_e64 v[6:7], v[8:9], -v[6:7]
	v_mov_b64_e32 v[8:9], v[4:5]
.LBB22_24:                              ;   Parent Loop BB22_8 Depth=1
                                        ; =>  This Inner Loop Header: Depth=2
	global_load_b64 v[20:21], v[8:9], off
	ds_load_b64 v[22:23], v18
	v_add_nc_u64_e32 v[10:11], 0x100, v[10:11]
	v_add_nc_u32_e32 v18, 0x800, v18
	s_delay_alu instid0(VALU_DEP_2)
	v_cmp_le_i64_e32 vcc_lo, s[4:5], v[10:11]
	s_or_b32 s13, vcc_lo, s13
	s_wait_loadcnt_dscnt 0x0
	v_fmac_f64_e32 v[20:21], v[6:7], v[22:23]
	global_store_b64 v[8:9], v[20:21], off
	s_wait_xcnt 0x0
	v_add_nc_u64_e32 v[8:9], 0x800, v[8:9]
	s_and_not1_b32 exec_lo, exec_lo, s13
	s_cbranch_execnz .LBB22_24
	s_branch .LBB22_7
.LBB22_25:
	s_endpgm
	.section	.rodata,"a",@progbits
	.p2align	6, 0x0
	.amdhsa_kernel _ZN9rocsolver6v33100L22larf_left_kernel_smallILi256EdlPdEEvT1_S3_T2_lS3_lPKT0_lS4_lS3_l
		.amdhsa_group_segment_fixed_size 18432
		.amdhsa_private_segment_fixed_size 0
		.amdhsa_kernarg_size 96
		.amdhsa_user_sgpr_count 2
		.amdhsa_user_sgpr_dispatch_ptr 0
		.amdhsa_user_sgpr_queue_ptr 0
		.amdhsa_user_sgpr_kernarg_segment_ptr 1
		.amdhsa_user_sgpr_dispatch_id 0
		.amdhsa_user_sgpr_kernarg_preload_length 0
		.amdhsa_user_sgpr_kernarg_preload_offset 0
		.amdhsa_user_sgpr_private_segment_size 0
		.amdhsa_wavefront_size32 1
		.amdhsa_uses_dynamic_stack 0
		.amdhsa_enable_private_segment 0
		.amdhsa_system_sgpr_workgroup_id_x 1
		.amdhsa_system_sgpr_workgroup_id_y 1
		.amdhsa_system_sgpr_workgroup_id_z 0
		.amdhsa_system_sgpr_workgroup_info 0
		.amdhsa_system_vgpr_workitem_id 0
		.amdhsa_next_free_vgpr 26
		.amdhsa_next_free_sgpr 26
		.amdhsa_named_barrier_count 0
		.amdhsa_reserve_vcc 1
		.amdhsa_float_round_mode_32 0
		.amdhsa_float_round_mode_16_64 0
		.amdhsa_float_denorm_mode_32 3
		.amdhsa_float_denorm_mode_16_64 3
		.amdhsa_fp16_overflow 0
		.amdhsa_memory_ordered 1
		.amdhsa_forward_progress 1
		.amdhsa_inst_pref_size 10
		.amdhsa_round_robin_scheduling 0
		.amdhsa_exception_fp_ieee_invalid_op 0
		.amdhsa_exception_fp_denorm_src 0
		.amdhsa_exception_fp_ieee_div_zero 0
		.amdhsa_exception_fp_ieee_overflow 0
		.amdhsa_exception_fp_ieee_underflow 0
		.amdhsa_exception_fp_ieee_inexact 0
		.amdhsa_exception_int_div_zero 0
	.end_amdhsa_kernel
	.section	.text._ZN9rocsolver6v33100L22larf_left_kernel_smallILi256EdlPdEEvT1_S3_T2_lS3_lPKT0_lS4_lS3_l,"axG",@progbits,_ZN9rocsolver6v33100L22larf_left_kernel_smallILi256EdlPdEEvT1_S3_T2_lS3_lPKT0_lS4_lS3_l,comdat
.Lfunc_end22:
	.size	_ZN9rocsolver6v33100L22larf_left_kernel_smallILi256EdlPdEEvT1_S3_T2_lS3_lPKT0_lS4_lS3_l, .Lfunc_end22-_ZN9rocsolver6v33100L22larf_left_kernel_smallILi256EdlPdEEvT1_S3_T2_lS3_lPKT0_lS4_lS3_l
                                        ; -- End function
	.set _ZN9rocsolver6v33100L22larf_left_kernel_smallILi256EdlPdEEvT1_S3_T2_lS3_lPKT0_lS4_lS3_l.num_vgpr, 26
	.set _ZN9rocsolver6v33100L22larf_left_kernel_smallILi256EdlPdEEvT1_S3_T2_lS3_lPKT0_lS4_lS3_l.num_agpr, 0
	.set _ZN9rocsolver6v33100L22larf_left_kernel_smallILi256EdlPdEEvT1_S3_T2_lS3_lPKT0_lS4_lS3_l.numbered_sgpr, 26
	.set _ZN9rocsolver6v33100L22larf_left_kernel_smallILi256EdlPdEEvT1_S3_T2_lS3_lPKT0_lS4_lS3_l.num_named_barrier, 0
	.set _ZN9rocsolver6v33100L22larf_left_kernel_smallILi256EdlPdEEvT1_S3_T2_lS3_lPKT0_lS4_lS3_l.private_seg_size, 0
	.set _ZN9rocsolver6v33100L22larf_left_kernel_smallILi256EdlPdEEvT1_S3_T2_lS3_lPKT0_lS4_lS3_l.uses_vcc, 1
	.set _ZN9rocsolver6v33100L22larf_left_kernel_smallILi256EdlPdEEvT1_S3_T2_lS3_lPKT0_lS4_lS3_l.uses_flat_scratch, 0
	.set _ZN9rocsolver6v33100L22larf_left_kernel_smallILi256EdlPdEEvT1_S3_T2_lS3_lPKT0_lS4_lS3_l.has_dyn_sized_stack, 0
	.set _ZN9rocsolver6v33100L22larf_left_kernel_smallILi256EdlPdEEvT1_S3_T2_lS3_lPKT0_lS4_lS3_l.has_recursion, 0
	.set _ZN9rocsolver6v33100L22larf_left_kernel_smallILi256EdlPdEEvT1_S3_T2_lS3_lPKT0_lS4_lS3_l.has_indirect_call, 0
	.section	.AMDGPU.csdata,"",@progbits
; Kernel info:
; codeLenInByte = 1228
; TotalNumSgprs: 28
; NumVgprs: 26
; ScratchSize: 0
; MemoryBound: 0
; FloatMode: 240
; IeeeMode: 1
; LDSByteSize: 18432 bytes/workgroup (compile time only)
; SGPRBlocks: 0
; VGPRBlocks: 1
; NumSGPRsForWavesPerEU: 28
; NumVGPRsForWavesPerEU: 26
; NamedBarCnt: 0
; Occupancy: 16
; WaveLimiterHint : 0
; COMPUTE_PGM_RSRC2:SCRATCH_EN: 0
; COMPUTE_PGM_RSRC2:USER_SGPR: 2
; COMPUTE_PGM_RSRC2:TRAP_HANDLER: 0
; COMPUTE_PGM_RSRC2:TGID_X_EN: 1
; COMPUTE_PGM_RSRC2:TGID_Y_EN: 1
; COMPUTE_PGM_RSRC2:TGID_Z_EN: 0
; COMPUTE_PGM_RSRC2:TIDIG_COMP_CNT: 0
	.section	.text._ZN9rocsolver6v33100L22larf_left_kernel_smallILi512EdlPdEEvT1_S3_T2_lS3_lPKT0_lS4_lS3_l,"axG",@progbits,_ZN9rocsolver6v33100L22larf_left_kernel_smallILi512EdlPdEEvT1_S3_T2_lS3_lPKT0_lS4_lS3_l,comdat
	.globl	_ZN9rocsolver6v33100L22larf_left_kernel_smallILi512EdlPdEEvT1_S3_T2_lS3_lPKT0_lS4_lS3_l ; -- Begin function _ZN9rocsolver6v33100L22larf_left_kernel_smallILi512EdlPdEEvT1_S3_T2_lS3_lPKT0_lS4_lS3_l
	.p2align	8
	.type	_ZN9rocsolver6v33100L22larf_left_kernel_smallILi512EdlPdEEvT1_S3_T2_lS3_lPKT0_lS4_lS3_l,@function
_ZN9rocsolver6v33100L22larf_left_kernel_smallILi512EdlPdEEvT1_S3_T2_lS3_lPKT0_lS4_lS3_l: ; @_ZN9rocsolver6v33100L22larf_left_kernel_smallILi512EdlPdEEvT1_S3_T2_lS3_lPKT0_lS4_lS3_l
; %bb.0:
	s_load_b512 s[4:19], s[0:1], 0x0
	s_mov_b64 s[20:21], 0
	s_wait_kmcnt 0x0
	v_cmp_gt_i64_e64 s2, s[12:13], 0
	s_and_b32 vcc_lo, exec_lo, s2
	s_cbranch_vccnz .LBB23_2
; %bb.1:
	s_sub_nc_u64 s[2:3], 1, s[4:5]
	s_delay_alu instid0(SALU_CYCLE_1)
	s_mul_u64 s[20:21], s[12:13], s[2:3]
.LBB23_2:
	s_bfe_u32 s2, ttmp6, 0x4000c
	v_dual_mov_b32 v1, 0 :: v_dual_lshlrev_b32 v12, 3, v0
	s_add_co_i32 s2, s2, 1
	s_and_b32 s3, ttmp6, 15
	s_mul_i32 s22, ttmp9, s2
	s_delay_alu instid0(VALU_DEP_1)
	v_cmp_gt_i64_e64 s2, s[4:5], v[0:1]
	s_add_co_i32 s22, s3, s22
	s_getreg_b32 s3, hwreg(HW_REG_IB_STS2, 6, 4)
	s_mov_b32 s23, 0
	s_cmp_eq_u32 s3, 0
	s_cselect_b32 s22, ttmp9, s22
	s_and_saveexec_b32 s24, s2
	s_cbranch_execz .LBB23_5
; %bb.3:
	v_mul_u64_e32 v[2:3], s[12:13], v[0:1]
	s_lshl_b64 s[10:11], s[10:11], 3
	s_mul_u64 s[14:15], s[14:15], s[22:23]
	s_lshl_b64 s[20:21], s[20:21], 3
	s_add_nc_u64 s[8:9], s[8:9], s[10:11]
	s_lshl_b64 s[10:11], s[14:15], 3
	s_add_nc_u64 s[8:9], s[8:9], s[20:21]
	v_mov_b64_e32 v[4:5], v[0:1]
	s_add_nc_u64 s[8:9], s[8:9], s[10:11]
	v_lshlrev_b32_e32 v6, 3, v0
	s_mov_b32 s10, s23
	s_delay_alu instid0(VALU_DEP_3)
	v_lshl_add_u64 v[2:3], v[2:3], 3, s[8:9]
	s_lshl_b64 s[8:9], s[12:13], 12
.LBB23_4:                               ; =>This Inner Loop Header: Depth=1
	global_load_b64 v[8:9], v[2:3], off
	v_add_nc_u64_e32 v[4:5], 0x200, v[4:5]
	s_wait_xcnt 0x0
	v_add_nc_u64_e32 v[2:3], s[8:9], v[2:3]
	s_delay_alu instid0(VALU_DEP_2)
	v_cmp_le_i64_e32 vcc_lo, s[4:5], v[4:5]
	s_or_b32 s10, vcc_lo, s10
	s_wait_loadcnt 0x0
	ds_store_b64 v6, v[8:9]
	v_add_nc_u32_e32 v6, 0x1000, v6
	s_and_not1_b32 exec_lo, exec_lo, s10
	s_cbranch_execnz .LBB23_4
.LBB23_5:
	s_or_b32 exec_lo, exec_lo, s24
	s_bfe_u32 s8, ttmp6, 0x40010
	s_bfe_u32 s9, ttmp6, 0x40004
	s_add_co_i32 s8, s8, 1
	s_mov_b32 s21, 0
	s_mul_i32 s8, ttmp7, s8
	s_wait_dscnt 0x0
	s_add_co_i32 s9, s9, s8
	s_cmp_eq_u32 s3, 0
	s_barrier_signal -1
	s_cselect_b32 s20, ttmp7, s9
	s_barrier_wait -1
	v_cmp_le_i64_e64 s3, s[6:7], s[20:21]
	s_and_b32 vcc_lo, exec_lo, s3
	s_cbranch_vccnz .LBB23_25
; %bb.6:
	s_load_b256 s[8:15], s[0:1], 0x40
	s_mul_u64 s[18:19], s[18:19], s[22:23]
	v_dual_lshrrev_b32 v13, 2, v0 :: v_dual_bitop2_b32 v4, 31, v0 bitop3:0x40
	s_lshl_b64 s[24:25], s[18:19], 3
	s_cmp_gt_i32 s4, 1
	v_dual_mov_b32 v3, 0 :: v_dual_lshlrev_b32 v2, 3, v0
	s_cselect_b32 s18, -1, 0
	v_mbcnt_lo_u32_b32 v14, -1, 0
	v_cmp_eq_u32_e64 s3, 0, v4
	s_wait_xcnt 0x0
	v_cmp_gt_i32_e64 s0, s4, v0
	v_cmp_eq_u32_e64 s1, 0, v0
	v_mov_b32_e32 v15, 0x4008
	v_mov_b32_e32 v16, 0x4018
	;; [unrolled: 1-line block ×4, first 2 shown]
	v_lshl_or_b32 v19, v14, 2, 64
	v_mov_b32_e32 v20, 0x4058
	v_mov_b32_e32 v21, 0x4068
	s_wait_kmcnt 0x0
	s_mul_u64 s[14:15], s[14:15], s[22:23]
	s_mul_u64 s[22:23], s[12:13], s[20:21]
	s_lshl_b64 s[14:15], s[14:15], 3
	s_lshl_b64 s[22:23], s[22:23], 3
	;; [unrolled: 1-line block ×3, first 2 shown]
	s_add_nc_u64 s[14:15], s[14:15], s[22:23]
	s_delay_alu instid0(SALU_CYCLE_1) | instskip(NEXT) | instid1(SALU_CYCLE_1)
	s_add_nc_u64 s[10:11], s[14:15], s[10:11]
	s_add_nc_u64 s[8:9], s[8:9], s[10:11]
	s_lshl_b64 s[10:11], s[12:13], 9
	v_add_nc_u64_e32 v[4:5], s[8:9], v[2:3]
	v_mov_b32_e32 v2, 0x4048
	s_add_nc_u64 s[8:9], s[16:17], s[24:25]
	s_branch .LBB23_8
.LBB23_7:                               ;   in Loop: Header=BB23_8 Depth=1
	s_or_b32 exec_lo, exec_lo, s12
	s_add_nc_u64 s[20:21], s[20:21], 64
	v_add_nc_u64_e32 v[4:5], s[10:11], v[4:5]
	v_cmp_ge_i64_e64 s12, s[20:21], s[6:7]
	s_and_b32 vcc_lo, exec_lo, s12
	s_cbranch_vccnz .LBB23_25
.LBB23_8:                               ; =>This Loop Header: Depth=1
                                        ;     Child Loop BB23_10 Depth 2
                                        ;     Child Loop BB23_24 Depth 2
	v_mov_b64_e32 v[6:7], 0
	s_and_saveexec_b32 s12, s0
	s_cbranch_execz .LBB23_12
; %bb.9:                                ;   in Loop: Header=BB23_8 Depth=1
	v_mov_b64_e32 v[6:7], 0
	v_mov_b64_e32 v[8:9], v[4:5]
	v_dual_mov_b32 v10, v12 :: v_dual_mov_b32 v11, v0
	s_mov_b32 s13, 0
.LBB23_10:                              ;   Parent Loop BB23_8 Depth=1
                                        ; =>  This Inner Loop Header: Depth=2
	global_load_b64 v[22:23], v[8:9], off
	ds_load_b64 v[24:25], v10
	v_add_nc_u32_e32 v11, 0x200, v11
	s_wait_xcnt 0x0
	v_add_nc_u64_e32 v[8:9], 0x1000, v[8:9]
	v_add_nc_u32_e32 v10, 0x1000, v10
	s_delay_alu instid0(VALU_DEP_3)
	v_cmp_le_i32_e32 vcc_lo, s4, v11
	s_or_b32 s13, vcc_lo, s13
	s_wait_loadcnt_dscnt 0x0
	v_fmac_f64_e32 v[6:7], v[24:25], v[22:23]
	s_and_not1_b32 exec_lo, exec_lo, s13
	s_cbranch_execnz .LBB23_10
; %bb.11:                               ;   in Loop: Header=BB23_8 Depth=1
	s_or_b32 exec_lo, exec_lo, s13
.LBB23_12:                              ;   in Loop: Header=BB23_8 Depth=1
	s_delay_alu instid0(SALU_CYCLE_1) | instskip(NEXT) | instid1(SALU_CYCLE_1)
	s_or_b32 exec_lo, exec_lo, s12
	s_and_b32 vcc_lo, exec_lo, s18
	s_cbranch_vccz .LBB23_19
; %bb.13:                               ;   in Loop: Header=BB23_8 Depth=1
	v_cmp_ne_u32_e32 vcc_lo, 31, v14
	v_add_co_ci_u32_e64 v8, null, 0, v14, vcc_lo
	v_cmp_gt_u32_e32 vcc_lo, 30, v14
	s_delay_alu instid0(VALU_DEP_2)
	v_lshlrev_b32_e32 v9, 2, v8
	v_cndmask_b32_e64 v10, 0, 2, vcc_lo
	v_cmp_gt_u32_e32 vcc_lo, 28, v14
	ds_bpermute_b32 v8, v9, v6
	ds_bpermute_b32 v9, v9, v7
	v_add_lshl_u32 v11, v10, v14, 2
	s_wait_dscnt 0x0
	v_add_f64_e32 v[8:9], v[6:7], v[8:9]
	ds_bpermute_b32 v10, v11, v8
	ds_bpermute_b32 v11, v11, v9
	s_wait_dscnt 0x0
	v_add_f64_e32 v[8:9], v[8:9], v[10:11]
	v_cndmask_b32_e64 v10, 0, 4, vcc_lo
	v_cmp_gt_u32_e32 vcc_lo, 24, v14
	s_delay_alu instid0(VALU_DEP_2)
	v_add_lshl_u32 v11, v10, v14, 2
	ds_bpermute_b32 v10, v11, v8
	ds_bpermute_b32 v11, v11, v9
	s_wait_dscnt 0x0
	v_add_f64_e32 v[8:9], v[8:9], v[10:11]
	v_cndmask_b32_e64 v10, 0, 8, vcc_lo
	s_delay_alu instid0(VALU_DEP_1)
	v_add_lshl_u32 v11, v10, v14, 2
	ds_bpermute_b32 v10, v11, v8
	ds_bpermute_b32 v11, v11, v9
	s_wait_dscnt 0x0
	v_add_f64_e32 v[8:9], v[8:9], v[10:11]
	ds_bpermute_b32 v10, v19, v8
	ds_bpermute_b32 v11, v19, v9
	s_wait_dscnt 0x0
	v_add_f64_e32 v[8:9], v[8:9], v[10:11]
	s_and_saveexec_b32 s12, s3
; %bb.14:                               ;   in Loop: Header=BB23_8 Depth=1
	ds_store_b64 v13, v[8:9] offset:16384
; %bb.15:                               ;   in Loop: Header=BB23_8 Depth=1
	s_or_b32 exec_lo, exec_lo, s12
	s_mov_b32 s13, 0
	s_mov_b32 s12, 0
	s_wait_dscnt 0x0
	s_barrier_signal -1
	s_barrier_wait -1
                                        ; implicit-def: $vgpr10_vgpr11
	s_and_saveexec_b32 s14, s1
	s_delay_alu instid0(SALU_CYCLE_1)
	s_xor_b32 s14, exec_lo, s14
	s_cbranch_execz .LBB23_17
; %bb.16:                               ;   in Loop: Header=BB23_8 Depth=1
	ds_load_2addr_b64 v[22:25], v15 offset1:1
	ds_load_2addr_b64 v[26:29], v16 offset1:1
	s_mov_b32 s12, exec_lo
	s_wait_dscnt 0x1
	v_add_f64_e32 v[8:9], v[8:9], v[22:23]
	s_delay_alu instid0(VALU_DEP_1) | instskip(SKIP_1) | instid1(VALU_DEP_1)
	v_add_f64_e32 v[8:9], v[8:9], v[24:25]
	s_wait_dscnt 0x0
	v_add_f64_e32 v[8:9], v[8:9], v[26:27]
	s_delay_alu instid0(VALU_DEP_1) | instskip(SKIP_4) | instid1(VALU_DEP_1)
	v_add_f64_e32 v[26:27], v[8:9], v[28:29]
	ds_load_2addr_b64 v[8:11], v17 offset1:1
	ds_load_2addr_b64 v[22:25], v18 offset1:1
	s_wait_dscnt 0x1
	v_add_f64_e32 v[8:9], v[26:27], v[8:9]
	v_add_f64_e32 v[8:9], v[8:9], v[10:11]
	s_wait_dscnt 0x0
	s_delay_alu instid0(VALU_DEP_1) | instskip(NEXT) | instid1(VALU_DEP_1)
	v_add_f64_e32 v[8:9], v[8:9], v[22:23]
	v_add_f64_e32 v[26:27], v[8:9], v[24:25]
	ds_load_2addr_b64 v[8:11], v2 offset1:1
	ds_load_2addr_b64 v[22:25], v20 offset1:1
	s_wait_dscnt 0x1
	v_add_f64_e32 v[8:9], v[26:27], v[8:9]
	s_delay_alu instid0(VALU_DEP_1) | instskip(SKIP_1) | instid1(VALU_DEP_1)
	v_add_f64_e32 v[8:9], v[8:9], v[10:11]
	s_wait_dscnt 0x0
	v_add_f64_e32 v[8:9], v[8:9], v[22:23]
	s_delay_alu instid0(VALU_DEP_1) | instskip(SKIP_4) | instid1(VALU_DEP_1)
	v_add_f64_e32 v[22:23], v[8:9], v[24:25]
	ds_load_2addr_b64 v[8:11], v21 offset1:1
	ds_load_b64 v[24:25], v3 offset:16504
	s_wait_dscnt 0x1
	v_add_f64_e32 v[8:9], v[22:23], v[8:9]
	v_add_f64_e32 v[8:9], v[8:9], v[10:11]
	s_wait_dscnt 0x0
	s_delay_alu instid0(VALU_DEP_1)
	v_add_f64_e32 v[10:11], v[8:9], v[24:25]
.LBB23_17:                              ;   in Loop: Header=BB23_8 Depth=1
	s_or_b32 exec_lo, exec_lo, s14
	s_delay_alu instid0(SALU_CYCLE_1)
	s_and_b32 vcc_lo, exec_lo, s13
	s_cbranch_vccnz .LBB23_20
.LBB23_18:                              ;   in Loop: Header=BB23_8 Depth=1
	s_delay_alu instid0(VALU_DEP_1)
	v_mov_b64_e32 v[6:7], v[10:11]
	s_and_saveexec_b32 s13, s12
	s_cbranch_execnz .LBB23_21
	s_branch .LBB23_22
.LBB23_19:                              ;   in Loop: Header=BB23_8 Depth=1
	s_mov_b32 s12, 0
                                        ; implicit-def: $vgpr10_vgpr11
	s_cbranch_execz .LBB23_18
.LBB23_20:                              ;   in Loop: Header=BB23_8 Depth=1
	s_and_not1_b32 s12, s12, exec_lo
	s_and_b32 s13, s1, exec_lo
	s_delay_alu instid0(SALU_CYCLE_1) | instskip(NEXT) | instid1(SALU_CYCLE_1)
	s_or_b32 s12, s12, s13
	s_and_saveexec_b32 s13, s12
.LBB23_21:                              ;   in Loop: Header=BB23_8 Depth=1
	ds_store_b64 v3, v[6:7] offset:16384
.LBB23_22:                              ;   in Loop: Header=BB23_8 Depth=1
	s_or_b32 exec_lo, exec_lo, s13
	s_wait_dscnt 0x0
	s_barrier_signal -1
	s_barrier_wait -1
	s_and_saveexec_b32 s12, s2
	s_cbranch_execz .LBB23_7
; %bb.23:                               ;   in Loop: Header=BB23_8 Depth=1
	global_load_b64 v[6:7], v3, s[8:9]
	ds_load_b64 v[8:9], v3 offset:16384
	v_mov_b64_e32 v[10:11], v[0:1]
	v_mov_b32_e32 v22, v12
	s_mov_b32 s13, 0
	s_wait_loadcnt_dscnt 0x0
	v_mul_f64_e64 v[6:7], v[8:9], -v[6:7]
	v_mov_b64_e32 v[8:9], v[4:5]
.LBB23_24:                              ;   Parent Loop BB23_8 Depth=1
                                        ; =>  This Inner Loop Header: Depth=2
	global_load_b64 v[24:25], v[8:9], off
	ds_load_b64 v[26:27], v22
	v_add_nc_u64_e32 v[10:11], 0x200, v[10:11]
	v_add_nc_u32_e32 v22, 0x1000, v22
	s_delay_alu instid0(VALU_DEP_2)
	v_cmp_le_i64_e32 vcc_lo, s[4:5], v[10:11]
	s_or_b32 s13, vcc_lo, s13
	s_wait_loadcnt_dscnt 0x0
	v_fmac_f64_e32 v[24:25], v[6:7], v[26:27]
	global_store_b64 v[8:9], v[24:25], off
	s_wait_xcnt 0x0
	v_add_nc_u64_e32 v[8:9], 0x1000, v[8:9]
	s_and_not1_b32 exec_lo, exec_lo, s13
	s_cbranch_execnz .LBB23_24
	s_branch .LBB23_7
.LBB23_25:
	s_endpgm
	.section	.rodata,"a",@progbits
	.p2align	6, 0x0
	.amdhsa_kernel _ZN9rocsolver6v33100L22larf_left_kernel_smallILi512EdlPdEEvT1_S3_T2_lS3_lPKT0_lS4_lS3_l
		.amdhsa_group_segment_fixed_size 20480
		.amdhsa_private_segment_fixed_size 0
		.amdhsa_kernarg_size 96
		.amdhsa_user_sgpr_count 2
		.amdhsa_user_sgpr_dispatch_ptr 0
		.amdhsa_user_sgpr_queue_ptr 0
		.amdhsa_user_sgpr_kernarg_segment_ptr 1
		.amdhsa_user_sgpr_dispatch_id 0
		.amdhsa_user_sgpr_kernarg_preload_length 0
		.amdhsa_user_sgpr_kernarg_preload_offset 0
		.amdhsa_user_sgpr_private_segment_size 0
		.amdhsa_wavefront_size32 1
		.amdhsa_uses_dynamic_stack 0
		.amdhsa_enable_private_segment 0
		.amdhsa_system_sgpr_workgroup_id_x 1
		.amdhsa_system_sgpr_workgroup_id_y 1
		.amdhsa_system_sgpr_workgroup_id_z 0
		.amdhsa_system_sgpr_workgroup_info 0
		.amdhsa_system_vgpr_workitem_id 0
		.amdhsa_next_free_vgpr 30
		.amdhsa_next_free_sgpr 26
		.amdhsa_named_barrier_count 0
		.amdhsa_reserve_vcc 1
		.amdhsa_float_round_mode_32 0
		.amdhsa_float_round_mode_16_64 0
		.amdhsa_float_denorm_mode_32 3
		.amdhsa_float_denorm_mode_16_64 3
		.amdhsa_fp16_overflow 0
		.amdhsa_memory_ordered 1
		.amdhsa_forward_progress 1
		.amdhsa_inst_pref_size 11
		.amdhsa_round_robin_scheduling 0
		.amdhsa_exception_fp_ieee_invalid_op 0
		.amdhsa_exception_fp_denorm_src 0
		.amdhsa_exception_fp_ieee_div_zero 0
		.amdhsa_exception_fp_ieee_overflow 0
		.amdhsa_exception_fp_ieee_underflow 0
		.amdhsa_exception_fp_ieee_inexact 0
		.amdhsa_exception_int_div_zero 0
	.end_amdhsa_kernel
	.section	.text._ZN9rocsolver6v33100L22larf_left_kernel_smallILi512EdlPdEEvT1_S3_T2_lS3_lPKT0_lS4_lS3_l,"axG",@progbits,_ZN9rocsolver6v33100L22larf_left_kernel_smallILi512EdlPdEEvT1_S3_T2_lS3_lPKT0_lS4_lS3_l,comdat
.Lfunc_end23:
	.size	_ZN9rocsolver6v33100L22larf_left_kernel_smallILi512EdlPdEEvT1_S3_T2_lS3_lPKT0_lS4_lS3_l, .Lfunc_end23-_ZN9rocsolver6v33100L22larf_left_kernel_smallILi512EdlPdEEvT1_S3_T2_lS3_lPKT0_lS4_lS3_l
                                        ; -- End function
	.set _ZN9rocsolver6v33100L22larf_left_kernel_smallILi512EdlPdEEvT1_S3_T2_lS3_lPKT0_lS4_lS3_l.num_vgpr, 30
	.set _ZN9rocsolver6v33100L22larf_left_kernel_smallILi512EdlPdEEvT1_S3_T2_lS3_lPKT0_lS4_lS3_l.num_agpr, 0
	.set _ZN9rocsolver6v33100L22larf_left_kernel_smallILi512EdlPdEEvT1_S3_T2_lS3_lPKT0_lS4_lS3_l.numbered_sgpr, 26
	.set _ZN9rocsolver6v33100L22larf_left_kernel_smallILi512EdlPdEEvT1_S3_T2_lS3_lPKT0_lS4_lS3_l.num_named_barrier, 0
	.set _ZN9rocsolver6v33100L22larf_left_kernel_smallILi512EdlPdEEvT1_S3_T2_lS3_lPKT0_lS4_lS3_l.private_seg_size, 0
	.set _ZN9rocsolver6v33100L22larf_left_kernel_smallILi512EdlPdEEvT1_S3_T2_lS3_lPKT0_lS4_lS3_l.uses_vcc, 1
	.set _ZN9rocsolver6v33100L22larf_left_kernel_smallILi512EdlPdEEvT1_S3_T2_lS3_lPKT0_lS4_lS3_l.uses_flat_scratch, 0
	.set _ZN9rocsolver6v33100L22larf_left_kernel_smallILi512EdlPdEEvT1_S3_T2_lS3_lPKT0_lS4_lS3_l.has_dyn_sized_stack, 0
	.set _ZN9rocsolver6v33100L22larf_left_kernel_smallILi512EdlPdEEvT1_S3_T2_lS3_lPKT0_lS4_lS3_l.has_recursion, 0
	.set _ZN9rocsolver6v33100L22larf_left_kernel_smallILi512EdlPdEEvT1_S3_T2_lS3_lPKT0_lS4_lS3_l.has_indirect_call, 0
	.section	.AMDGPU.csdata,"",@progbits
; Kernel info:
; codeLenInByte = 1352
; TotalNumSgprs: 28
; NumVgprs: 30
; ScratchSize: 0
; MemoryBound: 0
; FloatMode: 240
; IeeeMode: 1
; LDSByteSize: 20480 bytes/workgroup (compile time only)
; SGPRBlocks: 0
; VGPRBlocks: 1
; NumSGPRsForWavesPerEU: 28
; NumVGPRsForWavesPerEU: 30
; NamedBarCnt: 0
; Occupancy: 16
; WaveLimiterHint : 0
; COMPUTE_PGM_RSRC2:SCRATCH_EN: 0
; COMPUTE_PGM_RSRC2:USER_SGPR: 2
; COMPUTE_PGM_RSRC2:TRAP_HANDLER: 0
; COMPUTE_PGM_RSRC2:TGID_X_EN: 1
; COMPUTE_PGM_RSRC2:TGID_Y_EN: 1
; COMPUTE_PGM_RSRC2:TGID_Z_EN: 0
; COMPUTE_PGM_RSRC2:TIDIG_COMP_CNT: 0
	.section	.text._ZN9rocsolver6v33100L22larf_left_kernel_smallILi1024EdlPdEEvT1_S3_T2_lS3_lPKT0_lS4_lS3_l,"axG",@progbits,_ZN9rocsolver6v33100L22larf_left_kernel_smallILi1024EdlPdEEvT1_S3_T2_lS3_lPKT0_lS4_lS3_l,comdat
	.globl	_ZN9rocsolver6v33100L22larf_left_kernel_smallILi1024EdlPdEEvT1_S3_T2_lS3_lPKT0_lS4_lS3_l ; -- Begin function _ZN9rocsolver6v33100L22larf_left_kernel_smallILi1024EdlPdEEvT1_S3_T2_lS3_lPKT0_lS4_lS3_l
	.p2align	8
	.type	_ZN9rocsolver6v33100L22larf_left_kernel_smallILi1024EdlPdEEvT1_S3_T2_lS3_lPKT0_lS4_lS3_l,@function
_ZN9rocsolver6v33100L22larf_left_kernel_smallILi1024EdlPdEEvT1_S3_T2_lS3_lPKT0_lS4_lS3_l: ; @_ZN9rocsolver6v33100L22larf_left_kernel_smallILi1024EdlPdEEvT1_S3_T2_lS3_lPKT0_lS4_lS3_l
; %bb.0:
	s_load_b512 s[4:19], s[0:1], 0x0
	s_mov_b64 s[20:21], 0
	s_wait_kmcnt 0x0
	v_cmp_gt_i64_e64 s2, s[12:13], 0
	s_and_b32 vcc_lo, exec_lo, s2
	s_cbranch_vccnz .LBB24_2
; %bb.1:
	s_sub_nc_u64 s[2:3], 1, s[4:5]
	s_delay_alu instid0(SALU_CYCLE_1)
	s_mul_u64 s[20:21], s[12:13], s[2:3]
.LBB24_2:
	s_bfe_u32 s2, ttmp6, 0x4000c
	v_dual_mov_b32 v1, 0 :: v_dual_lshlrev_b32 v12, 3, v0
	s_add_co_i32 s2, s2, 1
	s_and_b32 s3, ttmp6, 15
	s_mul_i32 s22, ttmp9, s2
	s_delay_alu instid0(VALU_DEP_1)
	v_cmp_gt_i64_e64 s2, s[4:5], v[0:1]
	s_add_co_i32 s22, s3, s22
	s_getreg_b32 s3, hwreg(HW_REG_IB_STS2, 6, 4)
	s_mov_b32 s23, 0
	s_cmp_eq_u32 s3, 0
	s_cselect_b32 s22, ttmp9, s22
	s_and_saveexec_b32 s24, s2
	s_cbranch_execz .LBB24_5
; %bb.3:
	v_mul_u64_e32 v[2:3], s[12:13], v[0:1]
	s_lshl_b64 s[10:11], s[10:11], 3
	s_mul_u64 s[14:15], s[14:15], s[22:23]
	s_lshl_b64 s[20:21], s[20:21], 3
	s_add_nc_u64 s[8:9], s[8:9], s[10:11]
	s_lshl_b64 s[10:11], s[14:15], 3
	s_add_nc_u64 s[8:9], s[8:9], s[20:21]
	v_mov_b64_e32 v[4:5], v[0:1]
	s_add_nc_u64 s[8:9], s[8:9], s[10:11]
	v_lshlrev_b32_e32 v6, 3, v0
	s_mov_b32 s10, s23
	s_delay_alu instid0(VALU_DEP_3)
	v_lshl_add_u64 v[2:3], v[2:3], 3, s[8:9]
	s_lshl_b64 s[8:9], s[12:13], 13
.LBB24_4:                               ; =>This Inner Loop Header: Depth=1
	global_load_b64 v[8:9], v[2:3], off
	v_add_nc_u64_e32 v[4:5], 0x400, v[4:5]
	s_wait_xcnt 0x0
	v_add_nc_u64_e32 v[2:3], s[8:9], v[2:3]
	s_delay_alu instid0(VALU_DEP_2)
	v_cmp_le_i64_e32 vcc_lo, s[4:5], v[4:5]
	s_or_b32 s10, vcc_lo, s10
	s_wait_loadcnt 0x0
	ds_store_b64 v6, v[8:9]
	v_add_nc_u32_e32 v6, 0x2000, v6
	s_and_not1_b32 exec_lo, exec_lo, s10
	s_cbranch_execnz .LBB24_4
.LBB24_5:
	s_or_b32 exec_lo, exec_lo, s24
	s_bfe_u32 s8, ttmp6, 0x40010
	s_bfe_u32 s9, ttmp6, 0x40004
	s_add_co_i32 s8, s8, 1
	s_mov_b32 s21, 0
	s_mul_i32 s8, ttmp7, s8
	s_wait_dscnt 0x0
	s_add_co_i32 s9, s9, s8
	s_cmp_eq_u32 s3, 0
	s_barrier_signal -1
	s_cselect_b32 s20, ttmp7, s9
	s_barrier_wait -1
	v_cmp_le_i64_e64 s3, s[6:7], s[20:21]
	s_and_b32 vcc_lo, exec_lo, s3
	s_cbranch_vccnz .LBB24_25
; %bb.6:
	s_load_b256 s[8:15], s[0:1], 0x40
	s_mul_u64 s[18:19], s[18:19], s[22:23]
	v_dual_lshrrev_b32 v13, 2, v0 :: v_dual_bitop2_b32 v4, 31, v0 bitop3:0x40
	s_lshl_b64 s[24:25], s[18:19], 3
	s_cmp_gt_i32 s4, 1
	v_dual_mov_b32 v3, 0 :: v_dual_lshlrev_b32 v2, 3, v0
	s_cselect_b32 s18, -1, 0
	v_mbcnt_lo_u32_b32 v14, -1, 0
	v_cmp_eq_u32_e64 s3, 0, v4
	s_wait_xcnt 0x0
	v_cmp_gt_i32_e64 s0, s4, v0
	v_cmp_eq_u32_e64 s1, 0, v0
	v_mov_b32_e32 v15, 0x4008
	v_mov_b32_e32 v16, 0x4018
	;; [unrolled: 1-line block ×7, first 2 shown]
	s_wait_kmcnt 0x0
	s_mul_u64 s[14:15], s[14:15], s[22:23]
	s_mul_u64 s[22:23], s[12:13], s[20:21]
	s_lshl_b64 s[14:15], s[14:15], 3
	s_lshl_b64 s[22:23], s[22:23], 3
	s_lshl_b64 s[10:11], s[10:11], 3
	s_add_nc_u64 s[14:15], s[14:15], s[22:23]
	v_mov_b32_e32 v22, 0x4078
	s_add_nc_u64 s[10:11], s[14:15], s[10:11]
	v_lshl_or_b32 v23, v14, 2, 64
	s_add_nc_u64 s[8:9], s[8:9], s[10:11]
	v_mov_b32_e32 v24, 0x4098
	v_add_nc_u64_e32 v[4:5], s[8:9], v[2:3]
	v_mov_b32_e32 v2, 0x4088
	v_mov_b32_e32 v25, 0x40a8
	;; [unrolled: 1-line block ×6, first 2 shown]
	s_add_nc_u64 s[8:9], s[16:17], s[24:25]
	s_lshl_b64 s[10:11], s[12:13], 9
	s_branch .LBB24_8
.LBB24_7:                               ;   in Loop: Header=BB24_8 Depth=1
	s_or_b32 exec_lo, exec_lo, s12
	s_add_nc_u64 s[20:21], s[20:21], 64
	v_add_nc_u64_e32 v[4:5], s[10:11], v[4:5]
	v_cmp_ge_i64_e64 s12, s[20:21], s[6:7]
	s_and_b32 vcc_lo, exec_lo, s12
	s_cbranch_vccnz .LBB24_25
.LBB24_8:                               ; =>This Loop Header: Depth=1
                                        ;     Child Loop BB24_10 Depth 2
                                        ;     Child Loop BB24_24 Depth 2
	v_mov_b64_e32 v[6:7], 0
	s_and_saveexec_b32 s12, s0
	s_cbranch_execz .LBB24_12
; %bb.9:                                ;   in Loop: Header=BB24_8 Depth=1
	v_mov_b64_e32 v[6:7], 0
	v_mov_b64_e32 v[8:9], v[4:5]
	v_dual_mov_b32 v10, v12 :: v_dual_mov_b32 v11, v0
	s_mov_b32 s13, 0
.LBB24_10:                              ;   Parent Loop BB24_8 Depth=1
                                        ; =>  This Inner Loop Header: Depth=2
	global_load_b64 v[30:31], v[8:9], off
	ds_load_b64 v[32:33], v10
	v_add_nc_u32_e32 v11, 0x400, v11
	s_wait_xcnt 0x0
	v_add_nc_u64_e32 v[8:9], 0x2000, v[8:9]
	v_add_nc_u32_e32 v10, 0x2000, v10
	s_delay_alu instid0(VALU_DEP_3)
	v_cmp_le_i32_e32 vcc_lo, s4, v11
	s_or_b32 s13, vcc_lo, s13
	s_wait_loadcnt_dscnt 0x0
	v_fmac_f64_e32 v[6:7], v[32:33], v[30:31]
	s_and_not1_b32 exec_lo, exec_lo, s13
	s_cbranch_execnz .LBB24_10
; %bb.11:                               ;   in Loop: Header=BB24_8 Depth=1
	s_or_b32 exec_lo, exec_lo, s13
.LBB24_12:                              ;   in Loop: Header=BB24_8 Depth=1
	s_delay_alu instid0(SALU_CYCLE_1) | instskip(NEXT) | instid1(SALU_CYCLE_1)
	s_or_b32 exec_lo, exec_lo, s12
	s_and_b32 vcc_lo, exec_lo, s18
	s_cbranch_vccz .LBB24_19
; %bb.13:                               ;   in Loop: Header=BB24_8 Depth=1
	v_cmp_ne_u32_e32 vcc_lo, 31, v14
	v_add_co_ci_u32_e64 v8, null, 0, v14, vcc_lo
	v_cmp_gt_u32_e32 vcc_lo, 30, v14
	s_delay_alu instid0(VALU_DEP_2)
	v_lshlrev_b32_e32 v9, 2, v8
	v_cndmask_b32_e64 v10, 0, 2, vcc_lo
	v_cmp_gt_u32_e32 vcc_lo, 28, v14
	ds_bpermute_b32 v8, v9, v6
	ds_bpermute_b32 v9, v9, v7
	v_add_lshl_u32 v11, v10, v14, 2
	s_wait_dscnt 0x0
	v_add_f64_e32 v[8:9], v[6:7], v[8:9]
	ds_bpermute_b32 v10, v11, v8
	ds_bpermute_b32 v11, v11, v9
	s_wait_dscnt 0x0
	v_add_f64_e32 v[8:9], v[8:9], v[10:11]
	v_cndmask_b32_e64 v10, 0, 4, vcc_lo
	v_cmp_gt_u32_e32 vcc_lo, 24, v14
	s_delay_alu instid0(VALU_DEP_2)
	v_add_lshl_u32 v11, v10, v14, 2
	ds_bpermute_b32 v10, v11, v8
	ds_bpermute_b32 v11, v11, v9
	s_wait_dscnt 0x0
	v_add_f64_e32 v[8:9], v[8:9], v[10:11]
	v_cndmask_b32_e64 v10, 0, 8, vcc_lo
	s_delay_alu instid0(VALU_DEP_1)
	v_add_lshl_u32 v11, v10, v14, 2
	ds_bpermute_b32 v10, v11, v8
	ds_bpermute_b32 v11, v11, v9
	s_wait_dscnt 0x0
	v_add_f64_e32 v[8:9], v[8:9], v[10:11]
	ds_bpermute_b32 v10, v23, v8
	ds_bpermute_b32 v11, v23, v9
	s_wait_dscnt 0x0
	v_add_f64_e32 v[8:9], v[8:9], v[10:11]
	s_and_saveexec_b32 s12, s3
; %bb.14:                               ;   in Loop: Header=BB24_8 Depth=1
	ds_store_b64 v13, v[8:9] offset:16384
; %bb.15:                               ;   in Loop: Header=BB24_8 Depth=1
	s_or_b32 exec_lo, exec_lo, s12
	s_mov_b32 s13, 0
	s_mov_b32 s12, 0
	s_wait_dscnt 0x0
	s_barrier_signal -1
	s_barrier_wait -1
                                        ; implicit-def: $vgpr10_vgpr11
	s_and_saveexec_b32 s14, s1
	s_delay_alu instid0(SALU_CYCLE_1)
	s_xor_b32 s14, exec_lo, s14
	s_cbranch_execz .LBB24_17
; %bb.16:                               ;   in Loop: Header=BB24_8 Depth=1
	ds_load_2addr_b64 v[30:33], v15 offset1:1
	ds_load_2addr_b64 v[34:37], v16 offset1:1
	s_mov_b32 s12, exec_lo
	s_wait_dscnt 0x1
	v_add_f64_e32 v[8:9], v[8:9], v[30:31]
	s_delay_alu instid0(VALU_DEP_1) | instskip(SKIP_1) | instid1(VALU_DEP_1)
	v_add_f64_e32 v[8:9], v[8:9], v[32:33]
	s_wait_dscnt 0x0
	v_add_f64_e32 v[8:9], v[8:9], v[34:35]
	s_delay_alu instid0(VALU_DEP_1) | instskip(SKIP_4) | instid1(VALU_DEP_1)
	v_add_f64_e32 v[34:35], v[8:9], v[36:37]
	ds_load_2addr_b64 v[8:11], v17 offset1:1
	ds_load_2addr_b64 v[30:33], v18 offset1:1
	s_wait_dscnt 0x1
	v_add_f64_e32 v[8:9], v[34:35], v[8:9]
	v_add_f64_e32 v[8:9], v[8:9], v[10:11]
	s_wait_dscnt 0x0
	s_delay_alu instid0(VALU_DEP_1) | instskip(NEXT) | instid1(VALU_DEP_1)
	v_add_f64_e32 v[8:9], v[8:9], v[30:31]
	v_add_f64_e32 v[34:35], v[8:9], v[32:33]
	ds_load_2addr_b64 v[8:11], v19 offset1:1
	ds_load_2addr_b64 v[30:33], v20 offset1:1
	s_wait_dscnt 0x1
	v_add_f64_e32 v[8:9], v[34:35], v[8:9]
	s_delay_alu instid0(VALU_DEP_1) | instskip(SKIP_1) | instid1(VALU_DEP_1)
	v_add_f64_e32 v[8:9], v[8:9], v[10:11]
	s_wait_dscnt 0x0
	v_add_f64_e32 v[8:9], v[8:9], v[30:31]
	s_delay_alu instid0(VALU_DEP_1) | instskip(SKIP_4) | instid1(VALU_DEP_1)
	v_add_f64_e32 v[34:35], v[8:9], v[32:33]
	ds_load_2addr_b64 v[8:11], v21 offset1:1
	ds_load_2addr_b64 v[30:33], v22 offset1:1
	s_wait_dscnt 0x1
	v_add_f64_e32 v[8:9], v[34:35], v[8:9]
	v_add_f64_e32 v[8:9], v[8:9], v[10:11]
	s_wait_dscnt 0x0
	s_delay_alu instid0(VALU_DEP_1) | instskip(NEXT) | instid1(VALU_DEP_1)
	v_add_f64_e32 v[8:9], v[8:9], v[30:31]
	v_add_f64_e32 v[34:35], v[8:9], v[32:33]
	ds_load_2addr_b64 v[8:11], v2 offset1:1
	ds_load_2addr_b64 v[30:33], v24 offset1:1
	;; [unrolled: 19-line block ×3, first 2 shown]
	s_wait_dscnt 0x1
	v_add_f64_e32 v[8:9], v[34:35], v[8:9]
	s_delay_alu instid0(VALU_DEP_1) | instskip(SKIP_1) | instid1(VALU_DEP_1)
	v_add_f64_e32 v[8:9], v[8:9], v[10:11]
	s_wait_dscnt 0x0
	v_add_f64_e32 v[8:9], v[8:9], v[30:31]
	s_delay_alu instid0(VALU_DEP_1) | instskip(SKIP_4) | instid1(VALU_DEP_1)
	v_add_f64_e32 v[30:31], v[8:9], v[32:33]
	ds_load_2addr_b64 v[8:11], v29 offset1:1
	ds_load_b64 v[32:33], v3 offset:16632
	s_wait_dscnt 0x1
	v_add_f64_e32 v[8:9], v[30:31], v[8:9]
	v_add_f64_e32 v[8:9], v[8:9], v[10:11]
	s_wait_dscnt 0x0
	s_delay_alu instid0(VALU_DEP_1)
	v_add_f64_e32 v[10:11], v[8:9], v[32:33]
.LBB24_17:                              ;   in Loop: Header=BB24_8 Depth=1
	s_or_b32 exec_lo, exec_lo, s14
	s_delay_alu instid0(SALU_CYCLE_1)
	s_and_b32 vcc_lo, exec_lo, s13
	s_cbranch_vccnz .LBB24_20
.LBB24_18:                              ;   in Loop: Header=BB24_8 Depth=1
	s_delay_alu instid0(VALU_DEP_1)
	v_mov_b64_e32 v[6:7], v[10:11]
	s_and_saveexec_b32 s13, s12
	s_cbranch_execnz .LBB24_21
	s_branch .LBB24_22
.LBB24_19:                              ;   in Loop: Header=BB24_8 Depth=1
	s_mov_b32 s12, 0
                                        ; implicit-def: $vgpr10_vgpr11
	s_cbranch_execz .LBB24_18
.LBB24_20:                              ;   in Loop: Header=BB24_8 Depth=1
	s_and_not1_b32 s12, s12, exec_lo
	s_and_b32 s13, s1, exec_lo
	s_delay_alu instid0(SALU_CYCLE_1) | instskip(NEXT) | instid1(SALU_CYCLE_1)
	s_or_b32 s12, s12, s13
	s_and_saveexec_b32 s13, s12
.LBB24_21:                              ;   in Loop: Header=BB24_8 Depth=1
	ds_store_b64 v3, v[6:7] offset:16384
.LBB24_22:                              ;   in Loop: Header=BB24_8 Depth=1
	s_or_b32 exec_lo, exec_lo, s13
	s_wait_dscnt 0x0
	s_barrier_signal -1
	s_barrier_wait -1
	s_and_saveexec_b32 s12, s2
	s_cbranch_execz .LBB24_7
; %bb.23:                               ;   in Loop: Header=BB24_8 Depth=1
	global_load_b64 v[6:7], v3, s[8:9]
	ds_load_b64 v[8:9], v3 offset:16384
	v_mov_b64_e32 v[10:11], v[0:1]
	v_mov_b32_e32 v30, v12
	s_mov_b32 s13, 0
	s_wait_loadcnt_dscnt 0x0
	v_mul_f64_e64 v[6:7], v[8:9], -v[6:7]
	v_mov_b64_e32 v[8:9], v[4:5]
.LBB24_24:                              ;   Parent Loop BB24_8 Depth=1
                                        ; =>  This Inner Loop Header: Depth=2
	global_load_b64 v[32:33], v[8:9], off
	ds_load_b64 v[34:35], v30
	v_add_nc_u64_e32 v[10:11], 0x400, v[10:11]
	v_add_nc_u32_e32 v30, 0x2000, v30
	s_delay_alu instid0(VALU_DEP_2)
	v_cmp_le_i64_e32 vcc_lo, s[4:5], v[10:11]
	s_or_b32 s13, vcc_lo, s13
	s_wait_loadcnt_dscnt 0x0
	v_fmac_f64_e32 v[32:33], v[6:7], v[34:35]
	global_store_b64 v[8:9], v[32:33], off
	s_wait_xcnt 0x0
	v_add_nc_u64_e32 v[8:9], 0x2000, v[8:9]
	s_and_not1_b32 exec_lo, exec_lo, s13
	s_cbranch_execnz .LBB24_24
	s_branch .LBB24_7
.LBB24_25:
	s_endpgm
	.section	.rodata,"a",@progbits
	.p2align	6, 0x0
	.amdhsa_kernel _ZN9rocsolver6v33100L22larf_left_kernel_smallILi1024EdlPdEEvT1_S3_T2_lS3_lPKT0_lS4_lS3_l
		.amdhsa_group_segment_fixed_size 24576
		.amdhsa_private_segment_fixed_size 0
		.amdhsa_kernarg_size 96
		.amdhsa_user_sgpr_count 2
		.amdhsa_user_sgpr_dispatch_ptr 0
		.amdhsa_user_sgpr_queue_ptr 0
		.amdhsa_user_sgpr_kernarg_segment_ptr 1
		.amdhsa_user_sgpr_dispatch_id 0
		.amdhsa_user_sgpr_kernarg_preload_length 0
		.amdhsa_user_sgpr_kernarg_preload_offset 0
		.amdhsa_user_sgpr_private_segment_size 0
		.amdhsa_wavefront_size32 1
		.amdhsa_uses_dynamic_stack 0
		.amdhsa_enable_private_segment 0
		.amdhsa_system_sgpr_workgroup_id_x 1
		.amdhsa_system_sgpr_workgroup_id_y 1
		.amdhsa_system_sgpr_workgroup_id_z 0
		.amdhsa_system_sgpr_workgroup_info 0
		.amdhsa_system_vgpr_workitem_id 0
		.amdhsa_next_free_vgpr 38
		.amdhsa_next_free_sgpr 26
		.amdhsa_named_barrier_count 0
		.amdhsa_reserve_vcc 1
		.amdhsa_float_round_mode_32 0
		.amdhsa_float_round_mode_16_64 0
		.amdhsa_float_denorm_mode_32 3
		.amdhsa_float_denorm_mode_16_64 3
		.amdhsa_fp16_overflow 0
		.amdhsa_memory_ordered 1
		.amdhsa_forward_progress 1
		.amdhsa_inst_pref_size 13
		.amdhsa_round_robin_scheduling 0
		.amdhsa_exception_fp_ieee_invalid_op 0
		.amdhsa_exception_fp_denorm_src 0
		.amdhsa_exception_fp_ieee_div_zero 0
		.amdhsa_exception_fp_ieee_overflow 0
		.amdhsa_exception_fp_ieee_underflow 0
		.amdhsa_exception_fp_ieee_inexact 0
		.amdhsa_exception_int_div_zero 0
	.end_amdhsa_kernel
	.section	.text._ZN9rocsolver6v33100L22larf_left_kernel_smallILi1024EdlPdEEvT1_S3_T2_lS3_lPKT0_lS4_lS3_l,"axG",@progbits,_ZN9rocsolver6v33100L22larf_left_kernel_smallILi1024EdlPdEEvT1_S3_T2_lS3_lPKT0_lS4_lS3_l,comdat
.Lfunc_end24:
	.size	_ZN9rocsolver6v33100L22larf_left_kernel_smallILi1024EdlPdEEvT1_S3_T2_lS3_lPKT0_lS4_lS3_l, .Lfunc_end24-_ZN9rocsolver6v33100L22larf_left_kernel_smallILi1024EdlPdEEvT1_S3_T2_lS3_lPKT0_lS4_lS3_l
                                        ; -- End function
	.set _ZN9rocsolver6v33100L22larf_left_kernel_smallILi1024EdlPdEEvT1_S3_T2_lS3_lPKT0_lS4_lS3_l.num_vgpr, 38
	.set _ZN9rocsolver6v33100L22larf_left_kernel_smallILi1024EdlPdEEvT1_S3_T2_lS3_lPKT0_lS4_lS3_l.num_agpr, 0
	.set _ZN9rocsolver6v33100L22larf_left_kernel_smallILi1024EdlPdEEvT1_S3_T2_lS3_lPKT0_lS4_lS3_l.numbered_sgpr, 26
	.set _ZN9rocsolver6v33100L22larf_left_kernel_smallILi1024EdlPdEEvT1_S3_T2_lS3_lPKT0_lS4_lS3_l.num_named_barrier, 0
	.set _ZN9rocsolver6v33100L22larf_left_kernel_smallILi1024EdlPdEEvT1_S3_T2_lS3_lPKT0_lS4_lS3_l.private_seg_size, 0
	.set _ZN9rocsolver6v33100L22larf_left_kernel_smallILi1024EdlPdEEvT1_S3_T2_lS3_lPKT0_lS4_lS3_l.uses_vcc, 1
	.set _ZN9rocsolver6v33100L22larf_left_kernel_smallILi1024EdlPdEEvT1_S3_T2_lS3_lPKT0_lS4_lS3_l.uses_flat_scratch, 0
	.set _ZN9rocsolver6v33100L22larf_left_kernel_smallILi1024EdlPdEEvT1_S3_T2_lS3_lPKT0_lS4_lS3_l.has_dyn_sized_stack, 0
	.set _ZN9rocsolver6v33100L22larf_left_kernel_smallILi1024EdlPdEEvT1_S3_T2_lS3_lPKT0_lS4_lS3_l.has_recursion, 0
	.set _ZN9rocsolver6v33100L22larf_left_kernel_smallILi1024EdlPdEEvT1_S3_T2_lS3_lPKT0_lS4_lS3_l.has_indirect_call, 0
	.section	.AMDGPU.csdata,"",@progbits
; Kernel info:
; codeLenInByte = 1596
; TotalNumSgprs: 28
; NumVgprs: 38
; ScratchSize: 0
; MemoryBound: 0
; FloatMode: 240
; IeeeMode: 1
; LDSByteSize: 24576 bytes/workgroup (compile time only)
; SGPRBlocks: 0
; VGPRBlocks: 2
; NumSGPRsForWavesPerEU: 28
; NumVGPRsForWavesPerEU: 38
; NamedBarCnt: 0
; Occupancy: 16
; WaveLimiterHint : 0
; COMPUTE_PGM_RSRC2:SCRATCH_EN: 0
; COMPUTE_PGM_RSRC2:USER_SGPR: 2
; COMPUTE_PGM_RSRC2:TRAP_HANDLER: 0
; COMPUTE_PGM_RSRC2:TGID_X_EN: 1
; COMPUTE_PGM_RSRC2:TGID_Y_EN: 1
; COMPUTE_PGM_RSRC2:TGID_Z_EN: 0
; COMPUTE_PGM_RSRC2:TIDIG_COMP_CNT: 0
	.section	.text._ZN9rocsolver6v33100L23larf_right_kernel_smallILi64EdlPdEEvT1_S3_T2_lS3_lPKT0_lS4_lS3_l,"axG",@progbits,_ZN9rocsolver6v33100L23larf_right_kernel_smallILi64EdlPdEEvT1_S3_T2_lS3_lPKT0_lS4_lS3_l,comdat
	.globl	_ZN9rocsolver6v33100L23larf_right_kernel_smallILi64EdlPdEEvT1_S3_T2_lS3_lPKT0_lS4_lS3_l ; -- Begin function _ZN9rocsolver6v33100L23larf_right_kernel_smallILi64EdlPdEEvT1_S3_T2_lS3_lPKT0_lS4_lS3_l
	.p2align	8
	.type	_ZN9rocsolver6v33100L23larf_right_kernel_smallILi64EdlPdEEvT1_S3_T2_lS3_lPKT0_lS4_lS3_l,@function
_ZN9rocsolver6v33100L23larf_right_kernel_smallILi64EdlPdEEvT1_S3_T2_lS3_lPKT0_lS4_lS3_l: ; @_ZN9rocsolver6v33100L23larf_right_kernel_smallILi64EdlPdEEvT1_S3_T2_lS3_lPKT0_lS4_lS3_l
; %bb.0:
	s_load_b512 s[4:19], s[0:1], 0x0
	s_mov_b64 s[20:21], 0
	s_wait_kmcnt 0x0
	v_cmp_gt_i64_e64 s2, s[12:13], 0
	s_and_b32 vcc_lo, exec_lo, s2
	s_cbranch_vccnz .LBB25_2
; %bb.1:
	s_sub_nc_u64 s[2:3], 1, s[6:7]
	s_delay_alu instid0(SALU_CYCLE_1)
	s_mul_u64 s[20:21], s[12:13], s[2:3]
.LBB25_2:
	s_bfe_u32 s2, ttmp6, 0x4000c
	v_dual_mov_b32 v1, 0 :: v_dual_lshlrev_b32 v10, 3, v0
	s_add_co_i32 s2, s2, 1
	s_and_b32 s3, ttmp6, 15
	s_mul_i32 s22, ttmp9, s2
	s_delay_alu instid0(VALU_DEP_1)
	v_cmp_gt_i64_e64 s2, s[6:7], v[0:1]
	s_add_co_i32 s22, s3, s22
	s_getreg_b32 s3, hwreg(HW_REG_IB_STS2, 6, 4)
	s_mov_b32 s23, 0
	s_cmp_eq_u32 s3, 0
	s_cselect_b32 s22, ttmp9, s22
	s_and_saveexec_b32 s24, s2
	s_cbranch_execz .LBB25_5
; %bb.3:
	v_mul_u64_e32 v[2:3], s[12:13], v[0:1]
	s_lshl_b64 s[10:11], s[10:11], 3
	s_mul_u64 s[14:15], s[14:15], s[22:23]
	s_lshl_b64 s[20:21], s[20:21], 3
	s_add_nc_u64 s[8:9], s[8:9], s[10:11]
	s_lshl_b64 s[10:11], s[14:15], 3
	s_add_nc_u64 s[8:9], s[8:9], s[20:21]
	v_mov_b64_e32 v[4:5], v[0:1]
	s_add_nc_u64 s[8:9], s[8:9], s[10:11]
	v_lshlrev_b32_e32 v6, 3, v0
	s_mov_b32 s10, s23
	s_delay_alu instid0(VALU_DEP_3)
	v_lshl_add_u64 v[2:3], v[2:3], 3, s[8:9]
	s_lshl_b64 s[8:9], s[12:13], 9
.LBB25_4:                               ; =>This Inner Loop Header: Depth=1
	global_load_b64 v[8:9], v[2:3], off
	v_add_nc_u64_e32 v[4:5], 64, v[4:5]
	s_wait_xcnt 0x0
	v_add_nc_u64_e32 v[2:3], s[8:9], v[2:3]
	s_delay_alu instid0(VALU_DEP_2)
	v_cmp_le_i64_e32 vcc_lo, s[6:7], v[4:5]
	s_or_b32 s10, vcc_lo, s10
	s_wait_loadcnt 0x0
	ds_store_b64 v6, v[8:9]
	v_add_nc_u32_e32 v6, 0x200, v6
	s_and_not1_b32 exec_lo, exec_lo, s10
	s_cbranch_execnz .LBB25_4
.LBB25_5:
	s_or_b32 exec_lo, exec_lo, s24
	s_bfe_u32 s8, ttmp6, 0x40010
	s_bfe_u32 s9, ttmp6, 0x40004
	s_add_co_i32 s8, s8, 1
	s_mov_b32 s21, 0
	s_mul_i32 s8, ttmp7, s8
	s_wait_dscnt 0x0
	s_add_co_i32 s9, s9, s8
	s_cmp_eq_u32 s3, 0
	s_barrier_signal -1
	s_cselect_b32 s20, ttmp7, s9
	s_barrier_wait -1
	v_cmp_le_i64_e64 s3, s[4:5], s[20:21]
	s_and_b32 vcc_lo, exec_lo, s3
	s_cbranch_vccnz .LBB25_25
; %bb.6:
	s_load_b256 s[8:15], s[0:1], 0x40
	s_mul_u64 s[18:19], s[18:19], s[22:23]
	v_dual_lshrrev_b32 v11, 2, v0 :: v_dual_bitop2_b32 v4, 31, v0 bitop3:0x40
	s_lshl_b64 s[24:25], s[18:19], 3
	v_mbcnt_lo_u32_b32 v12, -1, 0
	s_wait_xcnt 0x0
	v_cmp_gt_i32_e64 s0, s6, v0
	v_cmp_eq_u32_e64 s1, 0, v0
	v_cmp_eq_u32_e64 s3, 0, v4
	v_mov_b32_e32 v15, 0
	v_lshl_or_b32 v13, v12, 2, 64
	s_wait_kmcnt 0x0
	v_mul_u64_e32 v[2:3], s[12:13], v[0:1]
	s_mul_u64 s[14:15], s[14:15], s[22:23]
	s_lshl_b64 s[10:11], s[10:11], 3
	s_lshl_b64 s[14:15], s[14:15], 3
	s_cmp_gt_i32 s6, 1
	v_mul_lo_u32 v14, v0, s12
	s_cselect_b32 s18, -1, 0
	s_lshl_b64 s[22:23], s[20:21], 3
	s_delay_alu instid0(SALU_CYCLE_1)
	s_add_nc_u64 s[22:23], s[8:9], s[22:23]
	s_add_nc_u64 s[8:9], s[8:9], s[14:15]
	;; [unrolled: 1-line block ×6, first 2 shown]
	s_lshl_b32 s16, s12, 6
	s_lshl_b64 s[12:13], s[12:13], 9
	s_delay_alu instid0(VALU_DEP_2)
	v_lshl_add_u64 v[2:3], v[2:3], 3, s[14:15]
	s_branch .LBB25_8
.LBB25_7:                               ;   in Loop: Header=BB25_8 Depth=1
	s_or_b32 exec_lo, exec_lo, s14
	s_add_nc_u64 s[20:21], s[20:21], 64
	v_add_nc_u64_e32 v[2:3], 0x200, v[2:3]
	v_cmp_ge_i64_e64 s14, s[20:21], s[4:5]
	s_and_b32 vcc_lo, exec_lo, s14
	s_cbranch_vccnz .LBB25_25
.LBB25_8:                               ; =>This Loop Header: Depth=1
                                        ;     Child Loop BB25_10 Depth 2
                                        ;     Child Loop BB25_24 Depth 2
	v_mov_b64_e32 v[4:5], 0
	s_and_saveexec_b32 s17, s0
	s_cbranch_execz .LBB25_12
; %bb.9:                                ;   in Loop: Header=BB25_8 Depth=1
	v_mov_b64_e32 v[4:5], 0
	v_dual_mov_b32 v6, v14 :: v_dual_mov_b32 v7, v10
	v_mov_b32_e32 v8, v0
	s_lshl_b64 s[14:15], s[20:21], 3
	s_mov_b32 s19, 0
	s_add_nc_u64 s[14:15], s[8:9], s[14:15]
.LBB25_10:                              ;   Parent Loop BB25_8 Depth=1
                                        ; =>  This Inner Loop Header: Depth=2
	global_load_b64 v[16:17], v6, s[14:15] scale_offset
	ds_load_b64 v[18:19], v7
	s_wait_xcnt 0x0
	v_dual_add_nc_u32 v8, 64, v8 :: v_dual_add_nc_u32 v6, s16, v6
	v_add_nc_u32_e32 v7, 0x200, v7
	s_delay_alu instid0(VALU_DEP_2)
	v_cmp_le_i32_e32 vcc_lo, s6, v8
	s_or_b32 s19, vcc_lo, s19
	s_wait_loadcnt_dscnt 0x0
	v_fmac_f64_e32 v[4:5], v[18:19], v[16:17]
	s_and_not1_b32 exec_lo, exec_lo, s19
	s_cbranch_execnz .LBB25_10
; %bb.11:                               ;   in Loop: Header=BB25_8 Depth=1
	s_or_b32 exec_lo, exec_lo, s19
.LBB25_12:                              ;   in Loop: Header=BB25_8 Depth=1
	s_delay_alu instid0(SALU_CYCLE_1) | instskip(NEXT) | instid1(SALU_CYCLE_1)
	s_or_b32 exec_lo, exec_lo, s17
	s_and_b32 vcc_lo, exec_lo, s18
	s_cbranch_vccz .LBB25_19
; %bb.13:                               ;   in Loop: Header=BB25_8 Depth=1
	v_cmp_ne_u32_e32 vcc_lo, 31, v12
	v_add_co_ci_u32_e64 v6, null, 0, v12, vcc_lo
	v_cmp_gt_u32_e32 vcc_lo, 30, v12
	s_delay_alu instid0(VALU_DEP_2)
	v_lshlrev_b32_e32 v7, 2, v6
	v_cndmask_b32_e64 v8, 0, 2, vcc_lo
	v_cmp_gt_u32_e32 vcc_lo, 28, v12
	ds_bpermute_b32 v6, v7, v4
	ds_bpermute_b32 v7, v7, v5
	v_add_lshl_u32 v9, v8, v12, 2
	s_wait_dscnt 0x0
	v_add_f64_e32 v[6:7], v[4:5], v[6:7]
	ds_bpermute_b32 v8, v9, v6
	ds_bpermute_b32 v9, v9, v7
	s_wait_dscnt 0x0
	v_add_f64_e32 v[6:7], v[6:7], v[8:9]
	v_cndmask_b32_e64 v8, 0, 4, vcc_lo
	v_cmp_gt_u32_e32 vcc_lo, 24, v12
	s_delay_alu instid0(VALU_DEP_2)
	v_add_lshl_u32 v9, v8, v12, 2
	ds_bpermute_b32 v8, v9, v6
	ds_bpermute_b32 v9, v9, v7
	s_wait_dscnt 0x0
	v_add_f64_e32 v[6:7], v[6:7], v[8:9]
	v_cndmask_b32_e64 v8, 0, 8, vcc_lo
	s_delay_alu instid0(VALU_DEP_1)
	v_add_lshl_u32 v9, v8, v12, 2
	ds_bpermute_b32 v8, v9, v6
	ds_bpermute_b32 v9, v9, v7
	s_wait_dscnt 0x0
	v_add_f64_e32 v[6:7], v[6:7], v[8:9]
	ds_bpermute_b32 v8, v13, v6
	ds_bpermute_b32 v9, v13, v7
	s_wait_dscnt 0x0
	v_add_f64_e32 v[8:9], v[6:7], v[8:9]
	s_and_saveexec_b32 s14, s3
; %bb.14:                               ;   in Loop: Header=BB25_8 Depth=1
	ds_store_b64 v11, v[8:9] offset:16384
; %bb.15:                               ;   in Loop: Header=BB25_8 Depth=1
	s_or_b32 exec_lo, exec_lo, s14
	s_mov_b32 s15, 0
	s_mov_b32 s14, 0
	s_wait_dscnt 0x0
	s_barrier_signal -1
	s_barrier_wait -1
                                        ; implicit-def: $vgpr6_vgpr7
	s_and_saveexec_b32 s17, s1
	s_delay_alu instid0(SALU_CYCLE_1)
	s_xor_b32 s17, exec_lo, s17
	s_cbranch_execz .LBB25_17
; %bb.16:                               ;   in Loop: Header=BB25_8 Depth=1
	ds_load_b64 v[6:7], v15 offset:16392
	s_mov_b32 s14, exec_lo
	s_wait_dscnt 0x0
	v_add_f64_e32 v[6:7], v[8:9], v[6:7]
.LBB25_17:                              ;   in Loop: Header=BB25_8 Depth=1
	s_or_b32 exec_lo, exec_lo, s17
	s_delay_alu instid0(SALU_CYCLE_1)
	s_and_b32 vcc_lo, exec_lo, s15
	s_cbranch_vccnz .LBB25_20
.LBB25_18:                              ;   in Loop: Header=BB25_8 Depth=1
	s_delay_alu instid0(VALU_DEP_1)
	v_mov_b64_e32 v[4:5], v[6:7]
	s_and_saveexec_b32 s15, s14
	s_cbranch_execnz .LBB25_21
	s_branch .LBB25_22
.LBB25_19:                              ;   in Loop: Header=BB25_8 Depth=1
	s_mov_b32 s14, 0
                                        ; implicit-def: $vgpr6_vgpr7
	s_cbranch_execz .LBB25_18
.LBB25_20:                              ;   in Loop: Header=BB25_8 Depth=1
	s_and_not1_b32 s14, s14, exec_lo
	s_and_b32 s15, s1, exec_lo
	s_delay_alu instid0(SALU_CYCLE_1) | instskip(NEXT) | instid1(SALU_CYCLE_1)
	s_or_b32 s14, s14, s15
	s_and_saveexec_b32 s15, s14
.LBB25_21:                              ;   in Loop: Header=BB25_8 Depth=1
	ds_store_b64 v15, v[4:5] offset:16384
.LBB25_22:                              ;   in Loop: Header=BB25_8 Depth=1
	s_or_b32 exec_lo, exec_lo, s15
	s_wait_dscnt 0x0
	s_barrier_signal -1
	s_barrier_wait -1
	s_and_saveexec_b32 s14, s2
	s_cbranch_execz .LBB25_7
; %bb.23:                               ;   in Loop: Header=BB25_8 Depth=1
	global_load_b64 v[4:5], v15, s[10:11]
	ds_load_b64 v[6:7], v15 offset:16384
	v_mov_b64_e32 v[8:9], v[0:1]
	v_mov_b32_e32 v16, v10
	s_mov_b32 s15, 0
	s_wait_loadcnt_dscnt 0x0
	v_mul_f64_e64 v[4:5], v[6:7], -v[4:5]
	v_mov_b64_e32 v[6:7], v[2:3]
.LBB25_24:                              ;   Parent Loop BB25_8 Depth=1
                                        ; =>  This Inner Loop Header: Depth=2
	global_load_b64 v[18:19], v[6:7], off
	ds_load_b64 v[20:21], v16
	v_add_nc_u64_e32 v[8:9], 64, v[8:9]
	v_add_nc_u32_e32 v16, 0x200, v16
	s_delay_alu instid0(VALU_DEP_2)
	v_cmp_le_i64_e32 vcc_lo, s[6:7], v[8:9]
	s_or_b32 s15, vcc_lo, s15
	s_wait_loadcnt_dscnt 0x0
	v_fmac_f64_e32 v[18:19], v[4:5], v[20:21]
	global_store_b64 v[6:7], v[18:19], off
	s_wait_xcnt 0x0
	v_add_nc_u64_e32 v[6:7], s[12:13], v[6:7]
	s_and_not1_b32 exec_lo, exec_lo, s15
	s_cbranch_execnz .LBB25_24
	s_branch .LBB25_7
.LBB25_25:
	s_endpgm
	.section	.rodata,"a",@progbits
	.p2align	6, 0x0
	.amdhsa_kernel _ZN9rocsolver6v33100L23larf_right_kernel_smallILi64EdlPdEEvT1_S3_T2_lS3_lPKT0_lS4_lS3_l
		.amdhsa_group_segment_fixed_size 16400
		.amdhsa_private_segment_fixed_size 0
		.amdhsa_kernarg_size 96
		.amdhsa_user_sgpr_count 2
		.amdhsa_user_sgpr_dispatch_ptr 0
		.amdhsa_user_sgpr_queue_ptr 0
		.amdhsa_user_sgpr_kernarg_segment_ptr 1
		.amdhsa_user_sgpr_dispatch_id 0
		.amdhsa_user_sgpr_kernarg_preload_length 0
		.amdhsa_user_sgpr_kernarg_preload_offset 0
		.amdhsa_user_sgpr_private_segment_size 0
		.amdhsa_wavefront_size32 1
		.amdhsa_uses_dynamic_stack 0
		.amdhsa_enable_private_segment 0
		.amdhsa_system_sgpr_workgroup_id_x 1
		.amdhsa_system_sgpr_workgroup_id_y 1
		.amdhsa_system_sgpr_workgroup_id_z 0
		.amdhsa_system_sgpr_workgroup_info 0
		.amdhsa_system_vgpr_workitem_id 0
		.amdhsa_next_free_vgpr 113
		.amdhsa_next_free_sgpr 26
		.amdhsa_named_barrier_count 0
		.amdhsa_reserve_vcc 1
		.amdhsa_float_round_mode_32 0
		.amdhsa_float_round_mode_16_64 0
		.amdhsa_float_denorm_mode_32 3
		.amdhsa_float_denorm_mode_16_64 3
		.amdhsa_fp16_overflow 0
		.amdhsa_memory_ordered 1
		.amdhsa_forward_progress 1
		.amdhsa_inst_pref_size 9
		.amdhsa_round_robin_scheduling 0
		.amdhsa_exception_fp_ieee_invalid_op 0
		.amdhsa_exception_fp_denorm_src 0
		.amdhsa_exception_fp_ieee_div_zero 0
		.amdhsa_exception_fp_ieee_overflow 0
		.amdhsa_exception_fp_ieee_underflow 0
		.amdhsa_exception_fp_ieee_inexact 0
		.amdhsa_exception_int_div_zero 0
	.end_amdhsa_kernel
	.section	.text._ZN9rocsolver6v33100L23larf_right_kernel_smallILi64EdlPdEEvT1_S3_T2_lS3_lPKT0_lS4_lS3_l,"axG",@progbits,_ZN9rocsolver6v33100L23larf_right_kernel_smallILi64EdlPdEEvT1_S3_T2_lS3_lPKT0_lS4_lS3_l,comdat
.Lfunc_end25:
	.size	_ZN9rocsolver6v33100L23larf_right_kernel_smallILi64EdlPdEEvT1_S3_T2_lS3_lPKT0_lS4_lS3_l, .Lfunc_end25-_ZN9rocsolver6v33100L23larf_right_kernel_smallILi64EdlPdEEvT1_S3_T2_lS3_lPKT0_lS4_lS3_l
                                        ; -- End function
	.set _ZN9rocsolver6v33100L23larf_right_kernel_smallILi64EdlPdEEvT1_S3_T2_lS3_lPKT0_lS4_lS3_l.num_vgpr, 22
	.set _ZN9rocsolver6v33100L23larf_right_kernel_smallILi64EdlPdEEvT1_S3_T2_lS3_lPKT0_lS4_lS3_l.num_agpr, 0
	.set _ZN9rocsolver6v33100L23larf_right_kernel_smallILi64EdlPdEEvT1_S3_T2_lS3_lPKT0_lS4_lS3_l.numbered_sgpr, 26
	.set _ZN9rocsolver6v33100L23larf_right_kernel_smallILi64EdlPdEEvT1_S3_T2_lS3_lPKT0_lS4_lS3_l.num_named_barrier, 0
	.set _ZN9rocsolver6v33100L23larf_right_kernel_smallILi64EdlPdEEvT1_S3_T2_lS3_lPKT0_lS4_lS3_l.private_seg_size, 0
	.set _ZN9rocsolver6v33100L23larf_right_kernel_smallILi64EdlPdEEvT1_S3_T2_lS3_lPKT0_lS4_lS3_l.uses_vcc, 1
	.set _ZN9rocsolver6v33100L23larf_right_kernel_smallILi64EdlPdEEvT1_S3_T2_lS3_lPKT0_lS4_lS3_l.uses_flat_scratch, 0
	.set _ZN9rocsolver6v33100L23larf_right_kernel_smallILi64EdlPdEEvT1_S3_T2_lS3_lPKT0_lS4_lS3_l.has_dyn_sized_stack, 0
	.set _ZN9rocsolver6v33100L23larf_right_kernel_smallILi64EdlPdEEvT1_S3_T2_lS3_lPKT0_lS4_lS3_l.has_recursion, 0
	.set _ZN9rocsolver6v33100L23larf_right_kernel_smallILi64EdlPdEEvT1_S3_T2_lS3_lPKT0_lS4_lS3_l.has_indirect_call, 0
	.section	.AMDGPU.csdata,"",@progbits
; Kernel info:
; codeLenInByte = 1152
; TotalNumSgprs: 28
; NumVgprs: 22
; ScratchSize: 0
; MemoryBound: 0
; FloatMode: 240
; IeeeMode: 1
; LDSByteSize: 16400 bytes/workgroup (compile time only)
; SGPRBlocks: 0
; VGPRBlocks: 7
; NumSGPRsForWavesPerEU: 28
; NumVGPRsForWavesPerEU: 113
; NamedBarCnt: 0
; Occupancy: 8
; WaveLimiterHint : 0
; COMPUTE_PGM_RSRC2:SCRATCH_EN: 0
; COMPUTE_PGM_RSRC2:USER_SGPR: 2
; COMPUTE_PGM_RSRC2:TRAP_HANDLER: 0
; COMPUTE_PGM_RSRC2:TGID_X_EN: 1
; COMPUTE_PGM_RSRC2:TGID_Y_EN: 1
; COMPUTE_PGM_RSRC2:TGID_Z_EN: 0
; COMPUTE_PGM_RSRC2:TIDIG_COMP_CNT: 0
	.section	.text._ZN9rocsolver6v33100L23larf_right_kernel_smallILi128EdlPdEEvT1_S3_T2_lS3_lPKT0_lS4_lS3_l,"axG",@progbits,_ZN9rocsolver6v33100L23larf_right_kernel_smallILi128EdlPdEEvT1_S3_T2_lS3_lPKT0_lS4_lS3_l,comdat
	.globl	_ZN9rocsolver6v33100L23larf_right_kernel_smallILi128EdlPdEEvT1_S3_T2_lS3_lPKT0_lS4_lS3_l ; -- Begin function _ZN9rocsolver6v33100L23larf_right_kernel_smallILi128EdlPdEEvT1_S3_T2_lS3_lPKT0_lS4_lS3_l
	.p2align	8
	.type	_ZN9rocsolver6v33100L23larf_right_kernel_smallILi128EdlPdEEvT1_S3_T2_lS3_lPKT0_lS4_lS3_l,@function
_ZN9rocsolver6v33100L23larf_right_kernel_smallILi128EdlPdEEvT1_S3_T2_lS3_lPKT0_lS4_lS3_l: ; @_ZN9rocsolver6v33100L23larf_right_kernel_smallILi128EdlPdEEvT1_S3_T2_lS3_lPKT0_lS4_lS3_l
; %bb.0:
	s_load_b512 s[4:19], s[0:1], 0x0
	s_mov_b64 s[20:21], 0
	s_wait_kmcnt 0x0
	v_cmp_gt_i64_e64 s2, s[12:13], 0
	s_and_b32 vcc_lo, exec_lo, s2
	s_cbranch_vccnz .LBB26_2
; %bb.1:
	s_sub_nc_u64 s[2:3], 1, s[6:7]
	s_delay_alu instid0(SALU_CYCLE_1)
	s_mul_u64 s[20:21], s[12:13], s[2:3]
.LBB26_2:
	s_bfe_u32 s2, ttmp6, 0x4000c
	v_dual_mov_b32 v1, 0 :: v_dual_lshlrev_b32 v10, 3, v0
	s_add_co_i32 s2, s2, 1
	s_and_b32 s3, ttmp6, 15
	s_mul_i32 s22, ttmp9, s2
	s_delay_alu instid0(VALU_DEP_1)
	v_cmp_gt_i64_e64 s2, s[6:7], v[0:1]
	s_add_co_i32 s22, s3, s22
	s_getreg_b32 s3, hwreg(HW_REG_IB_STS2, 6, 4)
	s_mov_b32 s23, 0
	s_cmp_eq_u32 s3, 0
	s_cselect_b32 s22, ttmp9, s22
	s_and_saveexec_b32 s24, s2
	s_cbranch_execz .LBB26_5
; %bb.3:
	v_mul_u64_e32 v[2:3], s[12:13], v[0:1]
	s_lshl_b64 s[10:11], s[10:11], 3
	s_mul_u64 s[14:15], s[14:15], s[22:23]
	s_lshl_b64 s[20:21], s[20:21], 3
	s_add_nc_u64 s[8:9], s[8:9], s[10:11]
	s_lshl_b64 s[10:11], s[14:15], 3
	s_add_nc_u64 s[8:9], s[8:9], s[20:21]
	v_mov_b64_e32 v[4:5], v[0:1]
	s_add_nc_u64 s[8:9], s[8:9], s[10:11]
	v_lshlrev_b32_e32 v6, 3, v0
	s_mov_b32 s10, s23
	s_delay_alu instid0(VALU_DEP_3)
	v_lshl_add_u64 v[2:3], v[2:3], 3, s[8:9]
	s_lshl_b64 s[8:9], s[12:13], 10
.LBB26_4:                               ; =>This Inner Loop Header: Depth=1
	global_load_b64 v[8:9], v[2:3], off
	v_add_nc_u64_e32 v[4:5], 0x80, v[4:5]
	s_wait_xcnt 0x0
	v_add_nc_u64_e32 v[2:3], s[8:9], v[2:3]
	s_delay_alu instid0(VALU_DEP_2)
	v_cmp_le_i64_e32 vcc_lo, s[6:7], v[4:5]
	s_or_b32 s10, vcc_lo, s10
	s_wait_loadcnt 0x0
	ds_store_b64 v6, v[8:9]
	v_add_nc_u32_e32 v6, 0x400, v6
	s_and_not1_b32 exec_lo, exec_lo, s10
	s_cbranch_execnz .LBB26_4
.LBB26_5:
	s_or_b32 exec_lo, exec_lo, s24
	s_bfe_u32 s8, ttmp6, 0x40010
	s_bfe_u32 s9, ttmp6, 0x40004
	s_add_co_i32 s8, s8, 1
	s_mov_b32 s21, 0
	s_mul_i32 s8, ttmp7, s8
	s_wait_dscnt 0x0
	s_add_co_i32 s9, s9, s8
	s_cmp_eq_u32 s3, 0
	s_barrier_signal -1
	s_cselect_b32 s20, ttmp7, s9
	s_barrier_wait -1
	v_cmp_le_i64_e64 s3, s[4:5], s[20:21]
	s_and_b32 vcc_lo, exec_lo, s3
	s_cbranch_vccnz .LBB26_25
; %bb.6:
	s_load_b256 s[8:15], s[0:1], 0x40
	s_mul_u64 s[18:19], s[18:19], s[22:23]
	v_dual_lshrrev_b32 v11, 2, v0 :: v_dual_bitop2_b32 v4, 31, v0 bitop3:0x40
	s_lshl_b64 s[24:25], s[18:19], 3
	v_mbcnt_lo_u32_b32 v12, -1, 0
	s_wait_xcnt 0x0
	v_cmp_gt_i32_e64 s0, s6, v0
	v_cmp_eq_u32_e64 s1, 0, v0
	v_dual_mov_b32 v13, 0x4008 :: v_dual_mov_b32 v16, 0
	v_cmp_eq_u32_e64 s3, 0, v4
	v_lshl_or_b32 v14, v12, 2, 64
	s_wait_kmcnt 0x0
	v_mul_u64_e32 v[2:3], s[12:13], v[0:1]
	s_mul_u64 s[14:15], s[14:15], s[22:23]
	s_lshl_b64 s[10:11], s[10:11], 3
	s_lshl_b64 s[14:15], s[14:15], 3
	s_cmp_gt_i32 s6, 1
	v_mul_lo_u32 v15, v0, s12
	s_cselect_b32 s18, -1, 0
	s_lshl_b64 s[22:23], s[20:21], 3
	s_delay_alu instid0(SALU_CYCLE_1)
	s_add_nc_u64 s[22:23], s[8:9], s[22:23]
	s_add_nc_u64 s[8:9], s[8:9], s[14:15]
	;; [unrolled: 1-line block ×6, first 2 shown]
	s_lshl_b32 s16, s12, 7
	s_lshl_b64 s[12:13], s[12:13], 10
	s_delay_alu instid0(VALU_DEP_2)
	v_lshl_add_u64 v[2:3], v[2:3], 3, s[14:15]
	s_branch .LBB26_8
.LBB26_7:                               ;   in Loop: Header=BB26_8 Depth=1
	s_or_b32 exec_lo, exec_lo, s14
	s_add_nc_u64 s[20:21], s[20:21], 64
	v_add_nc_u64_e32 v[2:3], 0x200, v[2:3]
	v_cmp_ge_i64_e64 s14, s[20:21], s[4:5]
	s_and_b32 vcc_lo, exec_lo, s14
	s_cbranch_vccnz .LBB26_25
.LBB26_8:                               ; =>This Loop Header: Depth=1
                                        ;     Child Loop BB26_10 Depth 2
                                        ;     Child Loop BB26_24 Depth 2
	v_mov_b64_e32 v[4:5], 0
	s_and_saveexec_b32 s17, s0
	s_cbranch_execz .LBB26_12
; %bb.9:                                ;   in Loop: Header=BB26_8 Depth=1
	v_mov_b64_e32 v[4:5], 0
	v_dual_mov_b32 v6, v15 :: v_dual_mov_b32 v7, v10
	v_mov_b32_e32 v8, v0
	s_lshl_b64 s[14:15], s[20:21], 3
	s_mov_b32 s19, 0
	s_add_nc_u64 s[14:15], s[8:9], s[14:15]
.LBB26_10:                              ;   Parent Loop BB26_8 Depth=1
                                        ; =>  This Inner Loop Header: Depth=2
	global_load_b64 v[18:19], v6, s[14:15] scale_offset
	ds_load_b64 v[20:21], v7
	v_add_nc_u32_e32 v8, 0x80, v8
	v_add_nc_u32_e32 v7, 0x400, v7
	s_wait_xcnt 0x0
	v_add_nc_u32_e32 v6, s16, v6
	s_delay_alu instid0(VALU_DEP_3)
	v_cmp_le_i32_e32 vcc_lo, s6, v8
	s_or_b32 s19, vcc_lo, s19
	s_wait_loadcnt_dscnt 0x0
	v_fmac_f64_e32 v[4:5], v[20:21], v[18:19]
	s_and_not1_b32 exec_lo, exec_lo, s19
	s_cbranch_execnz .LBB26_10
; %bb.11:                               ;   in Loop: Header=BB26_8 Depth=1
	s_or_b32 exec_lo, exec_lo, s19
.LBB26_12:                              ;   in Loop: Header=BB26_8 Depth=1
	s_delay_alu instid0(SALU_CYCLE_1) | instskip(NEXT) | instid1(SALU_CYCLE_1)
	s_or_b32 exec_lo, exec_lo, s17
	s_and_b32 vcc_lo, exec_lo, s18
	s_cbranch_vccz .LBB26_19
; %bb.13:                               ;   in Loop: Header=BB26_8 Depth=1
	v_cmp_ne_u32_e32 vcc_lo, 31, v12
	v_add_co_ci_u32_e64 v6, null, 0, v12, vcc_lo
	v_cmp_gt_u32_e32 vcc_lo, 30, v12
	s_delay_alu instid0(VALU_DEP_2)
	v_lshlrev_b32_e32 v7, 2, v6
	v_cndmask_b32_e64 v8, 0, 2, vcc_lo
	v_cmp_gt_u32_e32 vcc_lo, 28, v12
	ds_bpermute_b32 v6, v7, v4
	ds_bpermute_b32 v7, v7, v5
	v_add_lshl_u32 v9, v8, v12, 2
	s_wait_dscnt 0x0
	v_add_f64_e32 v[6:7], v[4:5], v[6:7]
	ds_bpermute_b32 v8, v9, v6
	ds_bpermute_b32 v9, v9, v7
	s_wait_dscnt 0x0
	v_add_f64_e32 v[6:7], v[6:7], v[8:9]
	v_cndmask_b32_e64 v8, 0, 4, vcc_lo
	v_cmp_gt_u32_e32 vcc_lo, 24, v12
	s_delay_alu instid0(VALU_DEP_2)
	v_add_lshl_u32 v9, v8, v12, 2
	ds_bpermute_b32 v8, v9, v6
	ds_bpermute_b32 v9, v9, v7
	s_wait_dscnt 0x0
	v_add_f64_e32 v[6:7], v[6:7], v[8:9]
	v_cndmask_b32_e64 v8, 0, 8, vcc_lo
	s_delay_alu instid0(VALU_DEP_1)
	v_add_lshl_u32 v9, v8, v12, 2
	ds_bpermute_b32 v8, v9, v6
	ds_bpermute_b32 v9, v9, v7
	s_wait_dscnt 0x0
	v_add_f64_e32 v[6:7], v[6:7], v[8:9]
	ds_bpermute_b32 v8, v14, v6
	ds_bpermute_b32 v9, v14, v7
	s_wait_dscnt 0x0
	v_add_f64_e32 v[6:7], v[6:7], v[8:9]
	s_and_saveexec_b32 s14, s3
; %bb.14:                               ;   in Loop: Header=BB26_8 Depth=1
	ds_store_b64 v11, v[6:7] offset:16384
; %bb.15:                               ;   in Loop: Header=BB26_8 Depth=1
	s_or_b32 exec_lo, exec_lo, s14
	s_mov_b32 s15, 0
	s_mov_b32 s14, 0
	s_wait_dscnt 0x0
	s_barrier_signal -1
	s_barrier_wait -1
                                        ; implicit-def: $vgpr8_vgpr9
	s_and_saveexec_b32 s17, s1
	s_delay_alu instid0(SALU_CYCLE_1)
	s_xor_b32 s17, exec_lo, s17
	s_cbranch_execz .LBB26_17
; %bb.16:                               ;   in Loop: Header=BB26_8 Depth=1
	ds_load_2addr_b64 v[18:21], v13 offset1:1
	ds_load_b64 v[8:9], v16 offset:16408
	s_mov_b32 s14, exec_lo
	s_wait_dscnt 0x1
	v_add_f64_e32 v[6:7], v[6:7], v[18:19]
	s_delay_alu instid0(VALU_DEP_1) | instskip(SKIP_1) | instid1(VALU_DEP_1)
	v_add_f64_e32 v[6:7], v[6:7], v[20:21]
	s_wait_dscnt 0x0
	v_add_f64_e32 v[8:9], v[6:7], v[8:9]
.LBB26_17:                              ;   in Loop: Header=BB26_8 Depth=1
	s_or_b32 exec_lo, exec_lo, s17
	s_delay_alu instid0(SALU_CYCLE_1)
	s_and_b32 vcc_lo, exec_lo, s15
	s_cbranch_vccnz .LBB26_20
.LBB26_18:                              ;   in Loop: Header=BB26_8 Depth=1
	s_delay_alu instid0(VALU_DEP_1)
	v_mov_b64_e32 v[4:5], v[8:9]
	s_and_saveexec_b32 s15, s14
	s_cbranch_execnz .LBB26_21
	s_branch .LBB26_22
.LBB26_19:                              ;   in Loop: Header=BB26_8 Depth=1
	s_mov_b32 s14, 0
                                        ; implicit-def: $vgpr8_vgpr9
	s_cbranch_execz .LBB26_18
.LBB26_20:                              ;   in Loop: Header=BB26_8 Depth=1
	s_and_not1_b32 s14, s14, exec_lo
	s_and_b32 s15, s1, exec_lo
	s_delay_alu instid0(SALU_CYCLE_1) | instskip(NEXT) | instid1(SALU_CYCLE_1)
	s_or_b32 s14, s14, s15
	s_and_saveexec_b32 s15, s14
.LBB26_21:                              ;   in Loop: Header=BB26_8 Depth=1
	ds_store_b64 v16, v[4:5] offset:16384
.LBB26_22:                              ;   in Loop: Header=BB26_8 Depth=1
	s_or_b32 exec_lo, exec_lo, s15
	s_wait_dscnt 0x0
	s_barrier_signal -1
	s_barrier_wait -1
	s_and_saveexec_b32 s14, s2
	s_cbranch_execz .LBB26_7
; %bb.23:                               ;   in Loop: Header=BB26_8 Depth=1
	global_load_b64 v[4:5], v16, s[10:11]
	ds_load_b64 v[6:7], v16 offset:16384
	v_mov_b64_e32 v[8:9], v[0:1]
	v_mov_b32_e32 v17, v10
	s_mov_b32 s15, 0
	s_wait_loadcnt_dscnt 0x0
	v_mul_f64_e64 v[4:5], v[6:7], -v[4:5]
	v_mov_b64_e32 v[6:7], v[2:3]
.LBB26_24:                              ;   Parent Loop BB26_8 Depth=1
                                        ; =>  This Inner Loop Header: Depth=2
	global_load_b64 v[18:19], v[6:7], off
	ds_load_b64 v[20:21], v17
	v_add_nc_u64_e32 v[8:9], 0x80, v[8:9]
	v_add_nc_u32_e32 v17, 0x400, v17
	s_delay_alu instid0(VALU_DEP_2)
	v_cmp_le_i64_e32 vcc_lo, s[6:7], v[8:9]
	s_or_b32 s15, vcc_lo, s15
	s_wait_loadcnt_dscnt 0x0
	v_fmac_f64_e32 v[18:19], v[4:5], v[20:21]
	global_store_b64 v[6:7], v[18:19], off
	s_wait_xcnt 0x0
	v_add_nc_u64_e32 v[6:7], s[12:13], v[6:7]
	s_and_not1_b32 exec_lo, exec_lo, s15
	s_cbranch_execnz .LBB26_24
	s_branch .LBB26_7
.LBB26_25:
	s_endpgm
	.section	.rodata,"a",@progbits
	.p2align	6, 0x0
	.amdhsa_kernel _ZN9rocsolver6v33100L23larf_right_kernel_smallILi128EdlPdEEvT1_S3_T2_lS3_lPKT0_lS4_lS3_l
		.amdhsa_group_segment_fixed_size 16416
		.amdhsa_private_segment_fixed_size 0
		.amdhsa_kernarg_size 96
		.amdhsa_user_sgpr_count 2
		.amdhsa_user_sgpr_dispatch_ptr 0
		.amdhsa_user_sgpr_queue_ptr 0
		.amdhsa_user_sgpr_kernarg_segment_ptr 1
		.amdhsa_user_sgpr_dispatch_id 0
		.amdhsa_user_sgpr_kernarg_preload_length 0
		.amdhsa_user_sgpr_kernarg_preload_offset 0
		.amdhsa_user_sgpr_private_segment_size 0
		.amdhsa_wavefront_size32 1
		.amdhsa_uses_dynamic_stack 0
		.amdhsa_enable_private_segment 0
		.amdhsa_system_sgpr_workgroup_id_x 1
		.amdhsa_system_sgpr_workgroup_id_y 1
		.amdhsa_system_sgpr_workgroup_id_z 0
		.amdhsa_system_sgpr_workgroup_info 0
		.amdhsa_system_vgpr_workitem_id 0
		.amdhsa_next_free_vgpr 22
		.amdhsa_next_free_sgpr 26
		.amdhsa_named_barrier_count 0
		.amdhsa_reserve_vcc 1
		.amdhsa_float_round_mode_32 0
		.amdhsa_float_round_mode_16_64 0
		.amdhsa_float_denorm_mode_32 3
		.amdhsa_float_denorm_mode_16_64 3
		.amdhsa_fp16_overflow 0
		.amdhsa_memory_ordered 1
		.amdhsa_forward_progress 1
		.amdhsa_inst_pref_size 10
		.amdhsa_round_robin_scheduling 0
		.amdhsa_exception_fp_ieee_invalid_op 0
		.amdhsa_exception_fp_denorm_src 0
		.amdhsa_exception_fp_ieee_div_zero 0
		.amdhsa_exception_fp_ieee_overflow 0
		.amdhsa_exception_fp_ieee_underflow 0
		.amdhsa_exception_fp_ieee_inexact 0
		.amdhsa_exception_int_div_zero 0
	.end_amdhsa_kernel
	.section	.text._ZN9rocsolver6v33100L23larf_right_kernel_smallILi128EdlPdEEvT1_S3_T2_lS3_lPKT0_lS4_lS3_l,"axG",@progbits,_ZN9rocsolver6v33100L23larf_right_kernel_smallILi128EdlPdEEvT1_S3_T2_lS3_lPKT0_lS4_lS3_l,comdat
.Lfunc_end26:
	.size	_ZN9rocsolver6v33100L23larf_right_kernel_smallILi128EdlPdEEvT1_S3_T2_lS3_lPKT0_lS4_lS3_l, .Lfunc_end26-_ZN9rocsolver6v33100L23larf_right_kernel_smallILi128EdlPdEEvT1_S3_T2_lS3_lPKT0_lS4_lS3_l
                                        ; -- End function
	.set _ZN9rocsolver6v33100L23larf_right_kernel_smallILi128EdlPdEEvT1_S3_T2_lS3_lPKT0_lS4_lS3_l.num_vgpr, 22
	.set _ZN9rocsolver6v33100L23larf_right_kernel_smallILi128EdlPdEEvT1_S3_T2_lS3_lPKT0_lS4_lS3_l.num_agpr, 0
	.set _ZN9rocsolver6v33100L23larf_right_kernel_smallILi128EdlPdEEvT1_S3_T2_lS3_lPKT0_lS4_lS3_l.numbered_sgpr, 26
	.set _ZN9rocsolver6v33100L23larf_right_kernel_smallILi128EdlPdEEvT1_S3_T2_lS3_lPKT0_lS4_lS3_l.num_named_barrier, 0
	.set _ZN9rocsolver6v33100L23larf_right_kernel_smallILi128EdlPdEEvT1_S3_T2_lS3_lPKT0_lS4_lS3_l.private_seg_size, 0
	.set _ZN9rocsolver6v33100L23larf_right_kernel_smallILi128EdlPdEEvT1_S3_T2_lS3_lPKT0_lS4_lS3_l.uses_vcc, 1
	.set _ZN9rocsolver6v33100L23larf_right_kernel_smallILi128EdlPdEEvT1_S3_T2_lS3_lPKT0_lS4_lS3_l.uses_flat_scratch, 0
	.set _ZN9rocsolver6v33100L23larf_right_kernel_smallILi128EdlPdEEvT1_S3_T2_lS3_lPKT0_lS4_lS3_l.has_dyn_sized_stack, 0
	.set _ZN9rocsolver6v33100L23larf_right_kernel_smallILi128EdlPdEEvT1_S3_T2_lS3_lPKT0_lS4_lS3_l.has_recursion, 0
	.set _ZN9rocsolver6v33100L23larf_right_kernel_smallILi128EdlPdEEvT1_S3_T2_lS3_lPKT0_lS4_lS3_l.has_indirect_call, 0
	.section	.AMDGPU.csdata,"",@progbits
; Kernel info:
; codeLenInByte = 1192
; TotalNumSgprs: 28
; NumVgprs: 22
; ScratchSize: 0
; MemoryBound: 0
; FloatMode: 240
; IeeeMode: 1
; LDSByteSize: 16416 bytes/workgroup (compile time only)
; SGPRBlocks: 0
; VGPRBlocks: 1
; NumSGPRsForWavesPerEU: 28
; NumVGPRsForWavesPerEU: 22
; NamedBarCnt: 0
; Occupancy: 16
; WaveLimiterHint : 0
; COMPUTE_PGM_RSRC2:SCRATCH_EN: 0
; COMPUTE_PGM_RSRC2:USER_SGPR: 2
; COMPUTE_PGM_RSRC2:TRAP_HANDLER: 0
; COMPUTE_PGM_RSRC2:TGID_X_EN: 1
; COMPUTE_PGM_RSRC2:TGID_Y_EN: 1
; COMPUTE_PGM_RSRC2:TGID_Z_EN: 0
; COMPUTE_PGM_RSRC2:TIDIG_COMP_CNT: 0
	.section	.text._ZN9rocsolver6v33100L23larf_right_kernel_smallILi256EdlPdEEvT1_S3_T2_lS3_lPKT0_lS4_lS3_l,"axG",@progbits,_ZN9rocsolver6v33100L23larf_right_kernel_smallILi256EdlPdEEvT1_S3_T2_lS3_lPKT0_lS4_lS3_l,comdat
	.globl	_ZN9rocsolver6v33100L23larf_right_kernel_smallILi256EdlPdEEvT1_S3_T2_lS3_lPKT0_lS4_lS3_l ; -- Begin function _ZN9rocsolver6v33100L23larf_right_kernel_smallILi256EdlPdEEvT1_S3_T2_lS3_lPKT0_lS4_lS3_l
	.p2align	8
	.type	_ZN9rocsolver6v33100L23larf_right_kernel_smallILi256EdlPdEEvT1_S3_T2_lS3_lPKT0_lS4_lS3_l,@function
_ZN9rocsolver6v33100L23larf_right_kernel_smallILi256EdlPdEEvT1_S3_T2_lS3_lPKT0_lS4_lS3_l: ; @_ZN9rocsolver6v33100L23larf_right_kernel_smallILi256EdlPdEEvT1_S3_T2_lS3_lPKT0_lS4_lS3_l
; %bb.0:
	s_load_b512 s[4:19], s[0:1], 0x0
	s_mov_b64 s[20:21], 0
	s_wait_kmcnt 0x0
	v_cmp_gt_i64_e64 s2, s[12:13], 0
	s_and_b32 vcc_lo, exec_lo, s2
	s_cbranch_vccnz .LBB27_2
; %bb.1:
	s_sub_nc_u64 s[2:3], 1, s[6:7]
	s_delay_alu instid0(SALU_CYCLE_1)
	s_mul_u64 s[20:21], s[12:13], s[2:3]
.LBB27_2:
	s_bfe_u32 s2, ttmp6, 0x4000c
	v_dual_mov_b32 v1, 0 :: v_dual_lshlrev_b32 v10, 3, v0
	s_add_co_i32 s2, s2, 1
	s_and_b32 s3, ttmp6, 15
	s_mul_i32 s22, ttmp9, s2
	s_delay_alu instid0(VALU_DEP_1)
	v_cmp_gt_i64_e64 s2, s[6:7], v[0:1]
	s_add_co_i32 s22, s3, s22
	s_getreg_b32 s3, hwreg(HW_REG_IB_STS2, 6, 4)
	s_mov_b32 s23, 0
	s_cmp_eq_u32 s3, 0
	s_cselect_b32 s22, ttmp9, s22
	s_and_saveexec_b32 s24, s2
	s_cbranch_execz .LBB27_5
; %bb.3:
	v_mul_u64_e32 v[2:3], s[12:13], v[0:1]
	s_lshl_b64 s[10:11], s[10:11], 3
	s_mul_u64 s[14:15], s[14:15], s[22:23]
	s_lshl_b64 s[20:21], s[20:21], 3
	s_add_nc_u64 s[8:9], s[8:9], s[10:11]
	s_lshl_b64 s[10:11], s[14:15], 3
	s_add_nc_u64 s[8:9], s[8:9], s[20:21]
	v_mov_b64_e32 v[4:5], v[0:1]
	s_add_nc_u64 s[8:9], s[8:9], s[10:11]
	v_lshlrev_b32_e32 v6, 3, v0
	s_mov_b32 s10, s23
	s_delay_alu instid0(VALU_DEP_3)
	v_lshl_add_u64 v[2:3], v[2:3], 3, s[8:9]
	s_lshl_b64 s[8:9], s[12:13], 11
.LBB27_4:                               ; =>This Inner Loop Header: Depth=1
	global_load_b64 v[8:9], v[2:3], off
	v_add_nc_u64_e32 v[4:5], 0x100, v[4:5]
	s_wait_xcnt 0x0
	v_add_nc_u64_e32 v[2:3], s[8:9], v[2:3]
	s_delay_alu instid0(VALU_DEP_2)
	v_cmp_le_i64_e32 vcc_lo, s[6:7], v[4:5]
	s_or_b32 s10, vcc_lo, s10
	s_wait_loadcnt 0x0
	ds_store_b64 v6, v[8:9]
	v_add_nc_u32_e32 v6, 0x800, v6
	s_and_not1_b32 exec_lo, exec_lo, s10
	s_cbranch_execnz .LBB27_4
.LBB27_5:
	s_or_b32 exec_lo, exec_lo, s24
	s_bfe_u32 s8, ttmp6, 0x40010
	s_bfe_u32 s9, ttmp6, 0x40004
	s_add_co_i32 s8, s8, 1
	s_mov_b32 s21, 0
	s_mul_i32 s8, ttmp7, s8
	s_wait_dscnt 0x0
	s_add_co_i32 s9, s9, s8
	s_cmp_eq_u32 s3, 0
	s_barrier_signal -1
	s_cselect_b32 s20, ttmp7, s9
	s_barrier_wait -1
	v_cmp_le_i64_e64 s3, s[4:5], s[20:21]
	s_and_b32 vcc_lo, exec_lo, s3
	s_cbranch_vccnz .LBB27_25
; %bb.6:
	s_load_b256 s[8:15], s[0:1], 0x40
	s_mul_u64 s[18:19], s[18:19], s[22:23]
	v_dual_lshrrev_b32 v11, 2, v0 :: v_dual_bitop2_b32 v4, 31, v0 bitop3:0x40
	s_lshl_b64 s[24:25], s[18:19], 3
	v_mbcnt_lo_u32_b32 v12, -1, 0
	s_wait_xcnt 0x0
	v_cmp_gt_i32_e64 s0, s6, v0
	v_cmp_eq_u32_e64 s1, 0, v0
	v_dual_mov_b32 v13, 0x4008 :: v_dual_mov_b32 v18, 0
	v_mov_b32_e32 v14, 0x4018
	v_mov_b32_e32 v15, 0x4028
	v_cmp_eq_u32_e64 s3, 0, v4
	v_lshl_or_b32 v16, v12, 2, 64
	s_wait_kmcnt 0x0
	v_mul_u64_e32 v[2:3], s[12:13], v[0:1]
	s_mul_u64 s[14:15], s[14:15], s[22:23]
	s_lshl_b64 s[10:11], s[10:11], 3
	s_lshl_b64 s[14:15], s[14:15], 3
	s_cmp_gt_i32 s6, 1
	v_mul_lo_u32 v17, v0, s12
	s_cselect_b32 s18, -1, 0
	s_lshl_b64 s[22:23], s[20:21], 3
	s_delay_alu instid0(SALU_CYCLE_1)
	s_add_nc_u64 s[22:23], s[8:9], s[22:23]
	s_add_nc_u64 s[8:9], s[8:9], s[14:15]
	;; [unrolled: 1-line block ×6, first 2 shown]
	s_lshl_b32 s16, s12, 8
	s_lshl_b64 s[12:13], s[12:13], 11
	s_delay_alu instid0(VALU_DEP_2)
	v_lshl_add_u64 v[2:3], v[2:3], 3, s[14:15]
	s_branch .LBB27_8
.LBB27_7:                               ;   in Loop: Header=BB27_8 Depth=1
	s_or_b32 exec_lo, exec_lo, s14
	s_add_nc_u64 s[20:21], s[20:21], 64
	v_add_nc_u64_e32 v[2:3], 0x200, v[2:3]
	v_cmp_ge_i64_e64 s14, s[20:21], s[4:5]
	s_and_b32 vcc_lo, exec_lo, s14
	s_cbranch_vccnz .LBB27_25
.LBB27_8:                               ; =>This Loop Header: Depth=1
                                        ;     Child Loop BB27_10 Depth 2
                                        ;     Child Loop BB27_24 Depth 2
	v_mov_b64_e32 v[4:5], 0
	s_and_saveexec_b32 s17, s0
	s_cbranch_execz .LBB27_12
; %bb.9:                                ;   in Loop: Header=BB27_8 Depth=1
	v_mov_b64_e32 v[4:5], 0
	v_dual_mov_b32 v6, v17 :: v_dual_mov_b32 v7, v10
	v_mov_b32_e32 v8, v0
	s_lshl_b64 s[14:15], s[20:21], 3
	s_mov_b32 s19, 0
	s_add_nc_u64 s[14:15], s[8:9], s[14:15]
.LBB27_10:                              ;   Parent Loop BB27_8 Depth=1
                                        ; =>  This Inner Loop Header: Depth=2
	global_load_b64 v[20:21], v6, s[14:15] scale_offset
	ds_load_b64 v[22:23], v7
	v_add_nc_u32_e32 v8, 0x100, v8
	v_add_nc_u32_e32 v7, 0x800, v7
	s_wait_xcnt 0x0
	v_add_nc_u32_e32 v6, s16, v6
	s_delay_alu instid0(VALU_DEP_3)
	v_cmp_le_i32_e32 vcc_lo, s6, v8
	s_or_b32 s19, vcc_lo, s19
	s_wait_loadcnt_dscnt 0x0
	v_fmac_f64_e32 v[4:5], v[22:23], v[20:21]
	s_and_not1_b32 exec_lo, exec_lo, s19
	s_cbranch_execnz .LBB27_10
; %bb.11:                               ;   in Loop: Header=BB27_8 Depth=1
	s_or_b32 exec_lo, exec_lo, s19
.LBB27_12:                              ;   in Loop: Header=BB27_8 Depth=1
	s_delay_alu instid0(SALU_CYCLE_1) | instskip(NEXT) | instid1(SALU_CYCLE_1)
	s_or_b32 exec_lo, exec_lo, s17
	s_and_b32 vcc_lo, exec_lo, s18
	s_cbranch_vccz .LBB27_19
; %bb.13:                               ;   in Loop: Header=BB27_8 Depth=1
	v_cmp_ne_u32_e32 vcc_lo, 31, v12
	v_add_co_ci_u32_e64 v6, null, 0, v12, vcc_lo
	v_cmp_gt_u32_e32 vcc_lo, 30, v12
	s_delay_alu instid0(VALU_DEP_2)
	v_lshlrev_b32_e32 v7, 2, v6
	v_cndmask_b32_e64 v8, 0, 2, vcc_lo
	v_cmp_gt_u32_e32 vcc_lo, 28, v12
	ds_bpermute_b32 v6, v7, v4
	ds_bpermute_b32 v7, v7, v5
	v_add_lshl_u32 v9, v8, v12, 2
	s_wait_dscnt 0x0
	v_add_f64_e32 v[6:7], v[4:5], v[6:7]
	ds_bpermute_b32 v8, v9, v6
	ds_bpermute_b32 v9, v9, v7
	s_wait_dscnt 0x0
	v_add_f64_e32 v[6:7], v[6:7], v[8:9]
	v_cndmask_b32_e64 v8, 0, 4, vcc_lo
	v_cmp_gt_u32_e32 vcc_lo, 24, v12
	s_delay_alu instid0(VALU_DEP_2)
	v_add_lshl_u32 v9, v8, v12, 2
	ds_bpermute_b32 v8, v9, v6
	ds_bpermute_b32 v9, v9, v7
	s_wait_dscnt 0x0
	v_add_f64_e32 v[6:7], v[6:7], v[8:9]
	v_cndmask_b32_e64 v8, 0, 8, vcc_lo
	s_delay_alu instid0(VALU_DEP_1)
	v_add_lshl_u32 v9, v8, v12, 2
	ds_bpermute_b32 v8, v9, v6
	ds_bpermute_b32 v9, v9, v7
	s_wait_dscnt 0x0
	v_add_f64_e32 v[6:7], v[6:7], v[8:9]
	ds_bpermute_b32 v8, v16, v6
	ds_bpermute_b32 v9, v16, v7
	s_wait_dscnt 0x0
	v_add_f64_e32 v[6:7], v[6:7], v[8:9]
	s_and_saveexec_b32 s14, s3
; %bb.14:                               ;   in Loop: Header=BB27_8 Depth=1
	ds_store_b64 v11, v[6:7] offset:16384
; %bb.15:                               ;   in Loop: Header=BB27_8 Depth=1
	s_or_b32 exec_lo, exec_lo, s14
	s_mov_b32 s15, 0
	s_mov_b32 s14, 0
	s_wait_dscnt 0x0
	s_barrier_signal -1
	s_barrier_wait -1
                                        ; implicit-def: $vgpr8_vgpr9
	s_and_saveexec_b32 s17, s1
	s_delay_alu instid0(SALU_CYCLE_1)
	s_xor_b32 s17, exec_lo, s17
	s_cbranch_execz .LBB27_17
; %bb.16:                               ;   in Loop: Header=BB27_8 Depth=1
	ds_load_2addr_b64 v[20:23], v13 offset1:1
	ds_load_2addr_b64 v[24:27], v14 offset1:1
	s_mov_b32 s14, exec_lo
	s_wait_dscnt 0x1
	v_add_f64_e32 v[6:7], v[6:7], v[20:21]
	s_delay_alu instid0(VALU_DEP_1) | instskip(SKIP_1) | instid1(VALU_DEP_1)
	v_add_f64_e32 v[6:7], v[6:7], v[22:23]
	s_wait_dscnt 0x0
	v_add_f64_e32 v[6:7], v[6:7], v[24:25]
	s_delay_alu instid0(VALU_DEP_1) | instskip(SKIP_4) | instid1(VALU_DEP_1)
	v_add_f64_e32 v[20:21], v[6:7], v[26:27]
	ds_load_2addr_b64 v[6:9], v15 offset1:1
	ds_load_b64 v[22:23], v18 offset:16440
	s_wait_dscnt 0x1
	v_add_f64_e32 v[6:7], v[20:21], v[6:7]
	v_add_f64_e32 v[6:7], v[6:7], v[8:9]
	s_wait_dscnt 0x0
	s_delay_alu instid0(VALU_DEP_1)
	v_add_f64_e32 v[8:9], v[6:7], v[22:23]
.LBB27_17:                              ;   in Loop: Header=BB27_8 Depth=1
	s_or_b32 exec_lo, exec_lo, s17
	s_delay_alu instid0(SALU_CYCLE_1)
	s_and_b32 vcc_lo, exec_lo, s15
	s_cbranch_vccnz .LBB27_20
.LBB27_18:                              ;   in Loop: Header=BB27_8 Depth=1
	s_delay_alu instid0(VALU_DEP_1)
	v_mov_b64_e32 v[4:5], v[8:9]
	s_and_saveexec_b32 s15, s14
	s_cbranch_execnz .LBB27_21
	s_branch .LBB27_22
.LBB27_19:                              ;   in Loop: Header=BB27_8 Depth=1
	s_mov_b32 s14, 0
                                        ; implicit-def: $vgpr8_vgpr9
	s_cbranch_execz .LBB27_18
.LBB27_20:                              ;   in Loop: Header=BB27_8 Depth=1
	s_and_not1_b32 s14, s14, exec_lo
	s_and_b32 s15, s1, exec_lo
	s_delay_alu instid0(SALU_CYCLE_1) | instskip(NEXT) | instid1(SALU_CYCLE_1)
	s_or_b32 s14, s14, s15
	s_and_saveexec_b32 s15, s14
.LBB27_21:                              ;   in Loop: Header=BB27_8 Depth=1
	ds_store_b64 v18, v[4:5] offset:16384
.LBB27_22:                              ;   in Loop: Header=BB27_8 Depth=1
	s_or_b32 exec_lo, exec_lo, s15
	s_wait_dscnt 0x0
	s_barrier_signal -1
	s_barrier_wait -1
	s_and_saveexec_b32 s14, s2
	s_cbranch_execz .LBB27_7
; %bb.23:                               ;   in Loop: Header=BB27_8 Depth=1
	global_load_b64 v[4:5], v18, s[10:11]
	ds_load_b64 v[6:7], v18 offset:16384
	v_mov_b64_e32 v[8:9], v[0:1]
	v_mov_b32_e32 v19, v10
	s_mov_b32 s15, 0
	s_wait_loadcnt_dscnt 0x0
	v_mul_f64_e64 v[4:5], v[6:7], -v[4:5]
	v_mov_b64_e32 v[6:7], v[2:3]
.LBB27_24:                              ;   Parent Loop BB27_8 Depth=1
                                        ; =>  This Inner Loop Header: Depth=2
	global_load_b64 v[20:21], v[6:7], off
	ds_load_b64 v[22:23], v19
	v_add_nc_u64_e32 v[8:9], 0x100, v[8:9]
	v_add_nc_u32_e32 v19, 0x800, v19
	s_delay_alu instid0(VALU_DEP_2)
	v_cmp_le_i64_e32 vcc_lo, s[6:7], v[8:9]
	s_or_b32 s15, vcc_lo, s15
	s_wait_loadcnt_dscnt 0x0
	v_fmac_f64_e32 v[20:21], v[4:5], v[22:23]
	global_store_b64 v[6:7], v[20:21], off
	s_wait_xcnt 0x0
	v_add_nc_u64_e32 v[6:7], s[12:13], v[6:7]
	s_and_not1_b32 exec_lo, exec_lo, s15
	s_cbranch_execnz .LBB27_24
	s_branch .LBB27_7
.LBB27_25:
	s_endpgm
	.section	.rodata,"a",@progbits
	.p2align	6, 0x0
	.amdhsa_kernel _ZN9rocsolver6v33100L23larf_right_kernel_smallILi256EdlPdEEvT1_S3_T2_lS3_lPKT0_lS4_lS3_l
		.amdhsa_group_segment_fixed_size 16448
		.amdhsa_private_segment_fixed_size 0
		.amdhsa_kernarg_size 96
		.amdhsa_user_sgpr_count 2
		.amdhsa_user_sgpr_dispatch_ptr 0
		.amdhsa_user_sgpr_queue_ptr 0
		.amdhsa_user_sgpr_kernarg_segment_ptr 1
		.amdhsa_user_sgpr_dispatch_id 0
		.amdhsa_user_sgpr_kernarg_preload_length 0
		.amdhsa_user_sgpr_kernarg_preload_offset 0
		.amdhsa_user_sgpr_private_segment_size 0
		.amdhsa_wavefront_size32 1
		.amdhsa_uses_dynamic_stack 0
		.amdhsa_enable_private_segment 0
		.amdhsa_system_sgpr_workgroup_id_x 1
		.amdhsa_system_sgpr_workgroup_id_y 1
		.amdhsa_system_sgpr_workgroup_id_z 0
		.amdhsa_system_sgpr_workgroup_info 0
		.amdhsa_system_vgpr_workitem_id 0
		.amdhsa_next_free_vgpr 28
		.amdhsa_next_free_sgpr 26
		.amdhsa_named_barrier_count 0
		.amdhsa_reserve_vcc 1
		.amdhsa_float_round_mode_32 0
		.amdhsa_float_round_mode_16_64 0
		.amdhsa_float_denorm_mode_32 3
		.amdhsa_float_denorm_mode_16_64 3
		.amdhsa_fp16_overflow 0
		.amdhsa_memory_ordered 1
		.amdhsa_forward_progress 1
		.amdhsa_inst_pref_size 10
		.amdhsa_round_robin_scheduling 0
		.amdhsa_exception_fp_ieee_invalid_op 0
		.amdhsa_exception_fp_denorm_src 0
		.amdhsa_exception_fp_ieee_div_zero 0
		.amdhsa_exception_fp_ieee_overflow 0
		.amdhsa_exception_fp_ieee_underflow 0
		.amdhsa_exception_fp_ieee_inexact 0
		.amdhsa_exception_int_div_zero 0
	.end_amdhsa_kernel
	.section	.text._ZN9rocsolver6v33100L23larf_right_kernel_smallILi256EdlPdEEvT1_S3_T2_lS3_lPKT0_lS4_lS3_l,"axG",@progbits,_ZN9rocsolver6v33100L23larf_right_kernel_smallILi256EdlPdEEvT1_S3_T2_lS3_lPKT0_lS4_lS3_l,comdat
.Lfunc_end27:
	.size	_ZN9rocsolver6v33100L23larf_right_kernel_smallILi256EdlPdEEvT1_S3_T2_lS3_lPKT0_lS4_lS3_l, .Lfunc_end27-_ZN9rocsolver6v33100L23larf_right_kernel_smallILi256EdlPdEEvT1_S3_T2_lS3_lPKT0_lS4_lS3_l
                                        ; -- End function
	.set _ZN9rocsolver6v33100L23larf_right_kernel_smallILi256EdlPdEEvT1_S3_T2_lS3_lPKT0_lS4_lS3_l.num_vgpr, 28
	.set _ZN9rocsolver6v33100L23larf_right_kernel_smallILi256EdlPdEEvT1_S3_T2_lS3_lPKT0_lS4_lS3_l.num_agpr, 0
	.set _ZN9rocsolver6v33100L23larf_right_kernel_smallILi256EdlPdEEvT1_S3_T2_lS3_lPKT0_lS4_lS3_l.numbered_sgpr, 26
	.set _ZN9rocsolver6v33100L23larf_right_kernel_smallILi256EdlPdEEvT1_S3_T2_lS3_lPKT0_lS4_lS3_l.num_named_barrier, 0
	.set _ZN9rocsolver6v33100L23larf_right_kernel_smallILi256EdlPdEEvT1_S3_T2_lS3_lPKT0_lS4_lS3_l.private_seg_size, 0
	.set _ZN9rocsolver6v33100L23larf_right_kernel_smallILi256EdlPdEEvT1_S3_T2_lS3_lPKT0_lS4_lS3_l.uses_vcc, 1
	.set _ZN9rocsolver6v33100L23larf_right_kernel_smallILi256EdlPdEEvT1_S3_T2_lS3_lPKT0_lS4_lS3_l.uses_flat_scratch, 0
	.set _ZN9rocsolver6v33100L23larf_right_kernel_smallILi256EdlPdEEvT1_S3_T2_lS3_lPKT0_lS4_lS3_l.has_dyn_sized_stack, 0
	.set _ZN9rocsolver6v33100L23larf_right_kernel_smallILi256EdlPdEEvT1_S3_T2_lS3_lPKT0_lS4_lS3_l.has_recursion, 0
	.set _ZN9rocsolver6v33100L23larf_right_kernel_smallILi256EdlPdEEvT1_S3_T2_lS3_lPKT0_lS4_lS3_l.has_indirect_call, 0
	.section	.AMDGPU.csdata,"",@progbits
; Kernel info:
; codeLenInByte = 1256
; TotalNumSgprs: 28
; NumVgprs: 28
; ScratchSize: 0
; MemoryBound: 0
; FloatMode: 240
; IeeeMode: 1
; LDSByteSize: 16448 bytes/workgroup (compile time only)
; SGPRBlocks: 0
; VGPRBlocks: 1
; NumSGPRsForWavesPerEU: 28
; NumVGPRsForWavesPerEU: 28
; NamedBarCnt: 0
; Occupancy: 16
; WaveLimiterHint : 0
; COMPUTE_PGM_RSRC2:SCRATCH_EN: 0
; COMPUTE_PGM_RSRC2:USER_SGPR: 2
; COMPUTE_PGM_RSRC2:TRAP_HANDLER: 0
; COMPUTE_PGM_RSRC2:TGID_X_EN: 1
; COMPUTE_PGM_RSRC2:TGID_Y_EN: 1
; COMPUTE_PGM_RSRC2:TGID_Z_EN: 0
; COMPUTE_PGM_RSRC2:TIDIG_COMP_CNT: 0
	.section	.text._ZN9rocsolver6v33100L23larf_right_kernel_smallILi512EdlPdEEvT1_S3_T2_lS3_lPKT0_lS4_lS3_l,"axG",@progbits,_ZN9rocsolver6v33100L23larf_right_kernel_smallILi512EdlPdEEvT1_S3_T2_lS3_lPKT0_lS4_lS3_l,comdat
	.globl	_ZN9rocsolver6v33100L23larf_right_kernel_smallILi512EdlPdEEvT1_S3_T2_lS3_lPKT0_lS4_lS3_l ; -- Begin function _ZN9rocsolver6v33100L23larf_right_kernel_smallILi512EdlPdEEvT1_S3_T2_lS3_lPKT0_lS4_lS3_l
	.p2align	8
	.type	_ZN9rocsolver6v33100L23larf_right_kernel_smallILi512EdlPdEEvT1_S3_T2_lS3_lPKT0_lS4_lS3_l,@function
_ZN9rocsolver6v33100L23larf_right_kernel_smallILi512EdlPdEEvT1_S3_T2_lS3_lPKT0_lS4_lS3_l: ; @_ZN9rocsolver6v33100L23larf_right_kernel_smallILi512EdlPdEEvT1_S3_T2_lS3_lPKT0_lS4_lS3_l
; %bb.0:
	s_load_b512 s[4:19], s[0:1], 0x0
	s_mov_b64 s[20:21], 0
	s_wait_kmcnt 0x0
	v_cmp_gt_i64_e64 s2, s[12:13], 0
	s_and_b32 vcc_lo, exec_lo, s2
	s_cbranch_vccnz .LBB28_2
; %bb.1:
	s_sub_nc_u64 s[2:3], 1, s[6:7]
	s_delay_alu instid0(SALU_CYCLE_1)
	s_mul_u64 s[20:21], s[12:13], s[2:3]
.LBB28_2:
	s_bfe_u32 s2, ttmp6, 0x4000c
	v_dual_mov_b32 v1, 0 :: v_dual_lshlrev_b32 v10, 3, v0
	s_add_co_i32 s2, s2, 1
	s_and_b32 s3, ttmp6, 15
	s_mul_i32 s22, ttmp9, s2
	s_delay_alu instid0(VALU_DEP_1)
	v_cmp_gt_i64_e64 s2, s[6:7], v[0:1]
	s_add_co_i32 s22, s3, s22
	s_getreg_b32 s3, hwreg(HW_REG_IB_STS2, 6, 4)
	s_mov_b32 s23, 0
	s_cmp_eq_u32 s3, 0
	s_cselect_b32 s22, ttmp9, s22
	s_and_saveexec_b32 s24, s2
	s_cbranch_execz .LBB28_5
; %bb.3:
	v_mul_u64_e32 v[2:3], s[12:13], v[0:1]
	s_lshl_b64 s[10:11], s[10:11], 3
	s_mul_u64 s[14:15], s[14:15], s[22:23]
	s_lshl_b64 s[20:21], s[20:21], 3
	s_add_nc_u64 s[8:9], s[8:9], s[10:11]
	s_lshl_b64 s[10:11], s[14:15], 3
	s_add_nc_u64 s[8:9], s[8:9], s[20:21]
	v_mov_b64_e32 v[4:5], v[0:1]
	s_add_nc_u64 s[8:9], s[8:9], s[10:11]
	v_lshlrev_b32_e32 v6, 3, v0
	s_mov_b32 s10, s23
	s_delay_alu instid0(VALU_DEP_3)
	v_lshl_add_u64 v[2:3], v[2:3], 3, s[8:9]
	s_lshl_b64 s[8:9], s[12:13], 12
.LBB28_4:                               ; =>This Inner Loop Header: Depth=1
	global_load_b64 v[8:9], v[2:3], off
	v_add_nc_u64_e32 v[4:5], 0x200, v[4:5]
	s_wait_xcnt 0x0
	v_add_nc_u64_e32 v[2:3], s[8:9], v[2:3]
	s_delay_alu instid0(VALU_DEP_2)
	v_cmp_le_i64_e32 vcc_lo, s[6:7], v[4:5]
	s_or_b32 s10, vcc_lo, s10
	s_wait_loadcnt 0x0
	ds_store_b64 v6, v[8:9]
	v_add_nc_u32_e32 v6, 0x1000, v6
	s_and_not1_b32 exec_lo, exec_lo, s10
	s_cbranch_execnz .LBB28_4
.LBB28_5:
	s_or_b32 exec_lo, exec_lo, s24
	s_bfe_u32 s8, ttmp6, 0x40010
	s_bfe_u32 s9, ttmp6, 0x40004
	s_add_co_i32 s8, s8, 1
	s_mov_b32 s21, 0
	s_mul_i32 s8, ttmp7, s8
	s_wait_dscnt 0x0
	s_add_co_i32 s9, s9, s8
	s_cmp_eq_u32 s3, 0
	s_barrier_signal -1
	s_cselect_b32 s20, ttmp7, s9
	s_barrier_wait -1
	v_cmp_le_i64_e64 s3, s[4:5], s[20:21]
	s_and_b32 vcc_lo, exec_lo, s3
	s_cbranch_vccnz .LBB28_25
; %bb.6:
	s_load_b256 s[8:15], s[0:1], 0x40
	s_mul_u64 s[18:19], s[18:19], s[22:23]
	v_dual_lshrrev_b32 v11, 2, v0 :: v_dual_bitop2_b32 v4, 31, v0 bitop3:0x40
	s_lshl_b64 s[24:25], s[18:19], 3
	v_mbcnt_lo_u32_b32 v12, -1, 0
	s_wait_xcnt 0x0
	v_cmp_gt_i32_e64 s0, s6, v0
	v_cmp_eq_u32_e64 s1, 0, v0
	v_dual_mov_b32 v13, 0x4008 :: v_dual_mov_b32 v22, 0
	v_mov_b32_e32 v14, 0x4018
	v_mov_b32_e32 v15, 0x4028
	;; [unrolled: 1-line block ×6, first 2 shown]
	v_cmp_eq_u32_e64 s3, 0, v4
	v_lshl_or_b32 v20, v12, 2, 64
	s_wait_kmcnt 0x0
	v_mul_u64_e32 v[2:3], s[12:13], v[0:1]
	s_mul_u64 s[14:15], s[14:15], s[22:23]
	s_lshl_b64 s[10:11], s[10:11], 3
	s_lshl_b64 s[14:15], s[14:15], 3
	s_cmp_gt_i32 s6, 1
	v_mul_lo_u32 v21, v0, s12
	s_cselect_b32 s18, -1, 0
	s_lshl_b64 s[22:23], s[20:21], 3
	s_delay_alu instid0(SALU_CYCLE_1)
	s_add_nc_u64 s[22:23], s[8:9], s[22:23]
	s_add_nc_u64 s[8:9], s[8:9], s[14:15]
	;; [unrolled: 1-line block ×6, first 2 shown]
	s_lshl_b32 s16, s12, 9
	s_lshl_b64 s[12:13], s[12:13], 12
	s_delay_alu instid0(VALU_DEP_2)
	v_lshl_add_u64 v[2:3], v[2:3], 3, s[14:15]
	s_branch .LBB28_8
.LBB28_7:                               ;   in Loop: Header=BB28_8 Depth=1
	s_or_b32 exec_lo, exec_lo, s14
	s_add_nc_u64 s[20:21], s[20:21], 64
	v_add_nc_u64_e32 v[2:3], 0x200, v[2:3]
	v_cmp_ge_i64_e64 s14, s[20:21], s[4:5]
	s_and_b32 vcc_lo, exec_lo, s14
	s_cbranch_vccnz .LBB28_25
.LBB28_8:                               ; =>This Loop Header: Depth=1
                                        ;     Child Loop BB28_10 Depth 2
                                        ;     Child Loop BB28_24 Depth 2
	v_mov_b64_e32 v[4:5], 0
	s_and_saveexec_b32 s17, s0
	s_cbranch_execz .LBB28_12
; %bb.9:                                ;   in Loop: Header=BB28_8 Depth=1
	v_mov_b64_e32 v[4:5], 0
	v_dual_mov_b32 v6, v21 :: v_dual_mov_b32 v7, v10
	v_mov_b32_e32 v8, v0
	s_lshl_b64 s[14:15], s[20:21], 3
	s_mov_b32 s19, 0
	s_add_nc_u64 s[14:15], s[8:9], s[14:15]
.LBB28_10:                              ;   Parent Loop BB28_8 Depth=1
                                        ; =>  This Inner Loop Header: Depth=2
	global_load_b64 v[24:25], v6, s[14:15] scale_offset
	ds_load_b64 v[26:27], v7
	v_add_nc_u32_e32 v8, 0x200, v8
	v_add_nc_u32_e32 v7, 0x1000, v7
	s_wait_xcnt 0x0
	v_add_nc_u32_e32 v6, s16, v6
	s_delay_alu instid0(VALU_DEP_3)
	v_cmp_le_i32_e32 vcc_lo, s6, v8
	s_or_b32 s19, vcc_lo, s19
	s_wait_loadcnt_dscnt 0x0
	v_fmac_f64_e32 v[4:5], v[26:27], v[24:25]
	s_and_not1_b32 exec_lo, exec_lo, s19
	s_cbranch_execnz .LBB28_10
; %bb.11:                               ;   in Loop: Header=BB28_8 Depth=1
	s_or_b32 exec_lo, exec_lo, s19
.LBB28_12:                              ;   in Loop: Header=BB28_8 Depth=1
	s_delay_alu instid0(SALU_CYCLE_1) | instskip(NEXT) | instid1(SALU_CYCLE_1)
	s_or_b32 exec_lo, exec_lo, s17
	s_and_b32 vcc_lo, exec_lo, s18
	s_cbranch_vccz .LBB28_19
; %bb.13:                               ;   in Loop: Header=BB28_8 Depth=1
	v_cmp_ne_u32_e32 vcc_lo, 31, v12
	v_add_co_ci_u32_e64 v6, null, 0, v12, vcc_lo
	v_cmp_gt_u32_e32 vcc_lo, 30, v12
	s_delay_alu instid0(VALU_DEP_2)
	v_lshlrev_b32_e32 v7, 2, v6
	v_cndmask_b32_e64 v8, 0, 2, vcc_lo
	v_cmp_gt_u32_e32 vcc_lo, 28, v12
	ds_bpermute_b32 v6, v7, v4
	ds_bpermute_b32 v7, v7, v5
	v_add_lshl_u32 v9, v8, v12, 2
	s_wait_dscnt 0x0
	v_add_f64_e32 v[6:7], v[4:5], v[6:7]
	ds_bpermute_b32 v8, v9, v6
	ds_bpermute_b32 v9, v9, v7
	s_wait_dscnt 0x0
	v_add_f64_e32 v[6:7], v[6:7], v[8:9]
	v_cndmask_b32_e64 v8, 0, 4, vcc_lo
	v_cmp_gt_u32_e32 vcc_lo, 24, v12
	s_delay_alu instid0(VALU_DEP_2)
	v_add_lshl_u32 v9, v8, v12, 2
	ds_bpermute_b32 v8, v9, v6
	ds_bpermute_b32 v9, v9, v7
	s_wait_dscnt 0x0
	v_add_f64_e32 v[6:7], v[6:7], v[8:9]
	v_cndmask_b32_e64 v8, 0, 8, vcc_lo
	s_delay_alu instid0(VALU_DEP_1)
	v_add_lshl_u32 v9, v8, v12, 2
	ds_bpermute_b32 v8, v9, v6
	ds_bpermute_b32 v9, v9, v7
	s_wait_dscnt 0x0
	v_add_f64_e32 v[6:7], v[6:7], v[8:9]
	ds_bpermute_b32 v8, v20, v6
	ds_bpermute_b32 v9, v20, v7
	s_wait_dscnt 0x0
	v_add_f64_e32 v[6:7], v[6:7], v[8:9]
	s_and_saveexec_b32 s14, s3
; %bb.14:                               ;   in Loop: Header=BB28_8 Depth=1
	ds_store_b64 v11, v[6:7] offset:16384
; %bb.15:                               ;   in Loop: Header=BB28_8 Depth=1
	s_or_b32 exec_lo, exec_lo, s14
	s_mov_b32 s15, 0
	s_mov_b32 s14, 0
	s_wait_dscnt 0x0
	s_barrier_signal -1
	s_barrier_wait -1
                                        ; implicit-def: $vgpr8_vgpr9
	s_and_saveexec_b32 s17, s1
	s_delay_alu instid0(SALU_CYCLE_1)
	s_xor_b32 s17, exec_lo, s17
	s_cbranch_execz .LBB28_17
; %bb.16:                               ;   in Loop: Header=BB28_8 Depth=1
	ds_load_2addr_b64 v[24:27], v13 offset1:1
	ds_load_2addr_b64 v[28:31], v14 offset1:1
	s_mov_b32 s14, exec_lo
	s_wait_dscnt 0x1
	v_add_f64_e32 v[6:7], v[6:7], v[24:25]
	s_delay_alu instid0(VALU_DEP_1) | instskip(SKIP_1) | instid1(VALU_DEP_1)
	v_add_f64_e32 v[6:7], v[6:7], v[26:27]
	s_wait_dscnt 0x0
	v_add_f64_e32 v[6:7], v[6:7], v[28:29]
	s_delay_alu instid0(VALU_DEP_1) | instskip(SKIP_4) | instid1(VALU_DEP_1)
	v_add_f64_e32 v[28:29], v[6:7], v[30:31]
	ds_load_2addr_b64 v[6:9], v15 offset1:1
	ds_load_2addr_b64 v[24:27], v16 offset1:1
	s_wait_dscnt 0x1
	v_add_f64_e32 v[6:7], v[28:29], v[6:7]
	v_add_f64_e32 v[6:7], v[6:7], v[8:9]
	s_wait_dscnt 0x0
	s_delay_alu instid0(VALU_DEP_1) | instskip(NEXT) | instid1(VALU_DEP_1)
	v_add_f64_e32 v[6:7], v[6:7], v[24:25]
	v_add_f64_e32 v[28:29], v[6:7], v[26:27]
	ds_load_2addr_b64 v[6:9], v17 offset1:1
	ds_load_2addr_b64 v[24:27], v18 offset1:1
	s_wait_dscnt 0x1
	v_add_f64_e32 v[6:7], v[28:29], v[6:7]
	s_delay_alu instid0(VALU_DEP_1) | instskip(SKIP_1) | instid1(VALU_DEP_1)
	v_add_f64_e32 v[6:7], v[6:7], v[8:9]
	s_wait_dscnt 0x0
	v_add_f64_e32 v[6:7], v[6:7], v[24:25]
	s_delay_alu instid0(VALU_DEP_1) | instskip(SKIP_4) | instid1(VALU_DEP_1)
	v_add_f64_e32 v[24:25], v[6:7], v[26:27]
	ds_load_2addr_b64 v[6:9], v19 offset1:1
	ds_load_b64 v[26:27], v22 offset:16504
	s_wait_dscnt 0x1
	v_add_f64_e32 v[6:7], v[24:25], v[6:7]
	v_add_f64_e32 v[6:7], v[6:7], v[8:9]
	s_wait_dscnt 0x0
	s_delay_alu instid0(VALU_DEP_1)
	v_add_f64_e32 v[8:9], v[6:7], v[26:27]
.LBB28_17:                              ;   in Loop: Header=BB28_8 Depth=1
	s_or_b32 exec_lo, exec_lo, s17
	s_delay_alu instid0(SALU_CYCLE_1)
	s_and_b32 vcc_lo, exec_lo, s15
	s_cbranch_vccnz .LBB28_20
.LBB28_18:                              ;   in Loop: Header=BB28_8 Depth=1
	s_delay_alu instid0(VALU_DEP_1)
	v_mov_b64_e32 v[4:5], v[8:9]
	s_and_saveexec_b32 s15, s14
	s_cbranch_execnz .LBB28_21
	s_branch .LBB28_22
.LBB28_19:                              ;   in Loop: Header=BB28_8 Depth=1
	s_mov_b32 s14, 0
                                        ; implicit-def: $vgpr8_vgpr9
	s_cbranch_execz .LBB28_18
.LBB28_20:                              ;   in Loop: Header=BB28_8 Depth=1
	s_and_not1_b32 s14, s14, exec_lo
	s_and_b32 s15, s1, exec_lo
	s_delay_alu instid0(SALU_CYCLE_1) | instskip(NEXT) | instid1(SALU_CYCLE_1)
	s_or_b32 s14, s14, s15
	s_and_saveexec_b32 s15, s14
.LBB28_21:                              ;   in Loop: Header=BB28_8 Depth=1
	ds_store_b64 v22, v[4:5] offset:16384
.LBB28_22:                              ;   in Loop: Header=BB28_8 Depth=1
	s_or_b32 exec_lo, exec_lo, s15
	s_wait_dscnt 0x0
	s_barrier_signal -1
	s_barrier_wait -1
	s_and_saveexec_b32 s14, s2
	s_cbranch_execz .LBB28_7
; %bb.23:                               ;   in Loop: Header=BB28_8 Depth=1
	global_load_b64 v[4:5], v22, s[10:11]
	ds_load_b64 v[6:7], v22 offset:16384
	v_mov_b64_e32 v[8:9], v[0:1]
	v_mov_b32_e32 v23, v10
	s_mov_b32 s15, 0
	s_wait_loadcnt_dscnt 0x0
	v_mul_f64_e64 v[4:5], v[6:7], -v[4:5]
	v_mov_b64_e32 v[6:7], v[2:3]
.LBB28_24:                              ;   Parent Loop BB28_8 Depth=1
                                        ; =>  This Inner Loop Header: Depth=2
	global_load_b64 v[24:25], v[6:7], off
	ds_load_b64 v[26:27], v23
	v_add_nc_u64_e32 v[8:9], 0x200, v[8:9]
	v_add_nc_u32_e32 v23, 0x1000, v23
	s_delay_alu instid0(VALU_DEP_2)
	v_cmp_le_i64_e32 vcc_lo, s[6:7], v[8:9]
	s_or_b32 s15, vcc_lo, s15
	s_wait_loadcnt_dscnt 0x0
	v_fmac_f64_e32 v[24:25], v[4:5], v[26:27]
	global_store_b64 v[6:7], v[24:25], off
	s_wait_xcnt 0x0
	v_add_nc_u64_e32 v[6:7], s[12:13], v[6:7]
	s_and_not1_b32 exec_lo, exec_lo, s15
	s_cbranch_execnz .LBB28_24
	s_branch .LBB28_7
.LBB28_25:
	s_endpgm
	.section	.rodata,"a",@progbits
	.p2align	6, 0x0
	.amdhsa_kernel _ZN9rocsolver6v33100L23larf_right_kernel_smallILi512EdlPdEEvT1_S3_T2_lS3_lPKT0_lS4_lS3_l
		.amdhsa_group_segment_fixed_size 16512
		.amdhsa_private_segment_fixed_size 0
		.amdhsa_kernarg_size 96
		.amdhsa_user_sgpr_count 2
		.amdhsa_user_sgpr_dispatch_ptr 0
		.amdhsa_user_sgpr_queue_ptr 0
		.amdhsa_user_sgpr_kernarg_segment_ptr 1
		.amdhsa_user_sgpr_dispatch_id 0
		.amdhsa_user_sgpr_kernarg_preload_length 0
		.amdhsa_user_sgpr_kernarg_preload_offset 0
		.amdhsa_user_sgpr_private_segment_size 0
		.amdhsa_wavefront_size32 1
		.amdhsa_uses_dynamic_stack 0
		.amdhsa_enable_private_segment 0
		.amdhsa_system_sgpr_workgroup_id_x 1
		.amdhsa_system_sgpr_workgroup_id_y 1
		.amdhsa_system_sgpr_workgroup_id_z 0
		.amdhsa_system_sgpr_workgroup_info 0
		.amdhsa_system_vgpr_workitem_id 0
		.amdhsa_next_free_vgpr 32
		.amdhsa_next_free_sgpr 26
		.amdhsa_named_barrier_count 0
		.amdhsa_reserve_vcc 1
		.amdhsa_float_round_mode_32 0
		.amdhsa_float_round_mode_16_64 0
		.amdhsa_float_denorm_mode_32 3
		.amdhsa_float_denorm_mode_16_64 3
		.amdhsa_fp16_overflow 0
		.amdhsa_memory_ordered 1
		.amdhsa_forward_progress 1
		.amdhsa_inst_pref_size 11
		.amdhsa_round_robin_scheduling 0
		.amdhsa_exception_fp_ieee_invalid_op 0
		.amdhsa_exception_fp_denorm_src 0
		.amdhsa_exception_fp_ieee_div_zero 0
		.amdhsa_exception_fp_ieee_overflow 0
		.amdhsa_exception_fp_ieee_underflow 0
		.amdhsa_exception_fp_ieee_inexact 0
		.amdhsa_exception_int_div_zero 0
	.end_amdhsa_kernel
	.section	.text._ZN9rocsolver6v33100L23larf_right_kernel_smallILi512EdlPdEEvT1_S3_T2_lS3_lPKT0_lS4_lS3_l,"axG",@progbits,_ZN9rocsolver6v33100L23larf_right_kernel_smallILi512EdlPdEEvT1_S3_T2_lS3_lPKT0_lS4_lS3_l,comdat
.Lfunc_end28:
	.size	_ZN9rocsolver6v33100L23larf_right_kernel_smallILi512EdlPdEEvT1_S3_T2_lS3_lPKT0_lS4_lS3_l, .Lfunc_end28-_ZN9rocsolver6v33100L23larf_right_kernel_smallILi512EdlPdEEvT1_S3_T2_lS3_lPKT0_lS4_lS3_l
                                        ; -- End function
	.set _ZN9rocsolver6v33100L23larf_right_kernel_smallILi512EdlPdEEvT1_S3_T2_lS3_lPKT0_lS4_lS3_l.num_vgpr, 32
	.set _ZN9rocsolver6v33100L23larf_right_kernel_smallILi512EdlPdEEvT1_S3_T2_lS3_lPKT0_lS4_lS3_l.num_agpr, 0
	.set _ZN9rocsolver6v33100L23larf_right_kernel_smallILi512EdlPdEEvT1_S3_T2_lS3_lPKT0_lS4_lS3_l.numbered_sgpr, 26
	.set _ZN9rocsolver6v33100L23larf_right_kernel_smallILi512EdlPdEEvT1_S3_T2_lS3_lPKT0_lS4_lS3_l.num_named_barrier, 0
	.set _ZN9rocsolver6v33100L23larf_right_kernel_smallILi512EdlPdEEvT1_S3_T2_lS3_lPKT0_lS4_lS3_l.private_seg_size, 0
	.set _ZN9rocsolver6v33100L23larf_right_kernel_smallILi512EdlPdEEvT1_S3_T2_lS3_lPKT0_lS4_lS3_l.uses_vcc, 1
	.set _ZN9rocsolver6v33100L23larf_right_kernel_smallILi512EdlPdEEvT1_S3_T2_lS3_lPKT0_lS4_lS3_l.uses_flat_scratch, 0
	.set _ZN9rocsolver6v33100L23larf_right_kernel_smallILi512EdlPdEEvT1_S3_T2_lS3_lPKT0_lS4_lS3_l.has_dyn_sized_stack, 0
	.set _ZN9rocsolver6v33100L23larf_right_kernel_smallILi512EdlPdEEvT1_S3_T2_lS3_lPKT0_lS4_lS3_l.has_recursion, 0
	.set _ZN9rocsolver6v33100L23larf_right_kernel_smallILi512EdlPdEEvT1_S3_T2_lS3_lPKT0_lS4_lS3_l.has_indirect_call, 0
	.section	.AMDGPU.csdata,"",@progbits
; Kernel info:
; codeLenInByte = 1380
; TotalNumSgprs: 28
; NumVgprs: 32
; ScratchSize: 0
; MemoryBound: 0
; FloatMode: 240
; IeeeMode: 1
; LDSByteSize: 16512 bytes/workgroup (compile time only)
; SGPRBlocks: 0
; VGPRBlocks: 1
; NumSGPRsForWavesPerEU: 28
; NumVGPRsForWavesPerEU: 32
; NamedBarCnt: 0
; Occupancy: 16
; WaveLimiterHint : 0
; COMPUTE_PGM_RSRC2:SCRATCH_EN: 0
; COMPUTE_PGM_RSRC2:USER_SGPR: 2
; COMPUTE_PGM_RSRC2:TRAP_HANDLER: 0
; COMPUTE_PGM_RSRC2:TGID_X_EN: 1
; COMPUTE_PGM_RSRC2:TGID_Y_EN: 1
; COMPUTE_PGM_RSRC2:TGID_Z_EN: 0
; COMPUTE_PGM_RSRC2:TIDIG_COMP_CNT: 0
	.section	.text._ZN9rocsolver6v33100L23larf_right_kernel_smallILi1024EdlPdEEvT1_S3_T2_lS3_lPKT0_lS4_lS3_l,"axG",@progbits,_ZN9rocsolver6v33100L23larf_right_kernel_smallILi1024EdlPdEEvT1_S3_T2_lS3_lPKT0_lS4_lS3_l,comdat
	.globl	_ZN9rocsolver6v33100L23larf_right_kernel_smallILi1024EdlPdEEvT1_S3_T2_lS3_lPKT0_lS4_lS3_l ; -- Begin function _ZN9rocsolver6v33100L23larf_right_kernel_smallILi1024EdlPdEEvT1_S3_T2_lS3_lPKT0_lS4_lS3_l
	.p2align	8
	.type	_ZN9rocsolver6v33100L23larf_right_kernel_smallILi1024EdlPdEEvT1_S3_T2_lS3_lPKT0_lS4_lS3_l,@function
_ZN9rocsolver6v33100L23larf_right_kernel_smallILi1024EdlPdEEvT1_S3_T2_lS3_lPKT0_lS4_lS3_l: ; @_ZN9rocsolver6v33100L23larf_right_kernel_smallILi1024EdlPdEEvT1_S3_T2_lS3_lPKT0_lS4_lS3_l
; %bb.0:
	s_load_b512 s[4:19], s[0:1], 0x0
	s_mov_b64 s[20:21], 0
	s_wait_kmcnt 0x0
	v_cmp_gt_i64_e64 s2, s[12:13], 0
	s_and_b32 vcc_lo, exec_lo, s2
	s_cbranch_vccnz .LBB29_2
; %bb.1:
	s_sub_nc_u64 s[2:3], 1, s[6:7]
	s_delay_alu instid0(SALU_CYCLE_1)
	s_mul_u64 s[20:21], s[12:13], s[2:3]
.LBB29_2:
	s_bfe_u32 s2, ttmp6, 0x4000c
	v_dual_mov_b32 v1, 0 :: v_dual_lshlrev_b32 v10, 3, v0
	s_add_co_i32 s2, s2, 1
	s_and_b32 s3, ttmp6, 15
	s_mul_i32 s22, ttmp9, s2
	s_delay_alu instid0(VALU_DEP_1)
	v_cmp_gt_i64_e64 s2, s[6:7], v[0:1]
	s_add_co_i32 s22, s3, s22
	s_getreg_b32 s3, hwreg(HW_REG_IB_STS2, 6, 4)
	s_mov_b32 s23, 0
	s_cmp_eq_u32 s3, 0
	s_cselect_b32 s22, ttmp9, s22
	s_and_saveexec_b32 s24, s2
	s_cbranch_execz .LBB29_5
; %bb.3:
	v_mul_u64_e32 v[2:3], s[12:13], v[0:1]
	s_lshl_b64 s[10:11], s[10:11], 3
	s_mul_u64 s[14:15], s[14:15], s[22:23]
	s_lshl_b64 s[20:21], s[20:21], 3
	s_add_nc_u64 s[8:9], s[8:9], s[10:11]
	s_lshl_b64 s[10:11], s[14:15], 3
	s_add_nc_u64 s[8:9], s[8:9], s[20:21]
	v_mov_b64_e32 v[4:5], v[0:1]
	s_add_nc_u64 s[8:9], s[8:9], s[10:11]
	v_lshlrev_b32_e32 v6, 3, v0
	s_mov_b32 s10, s23
	s_delay_alu instid0(VALU_DEP_3)
	v_lshl_add_u64 v[2:3], v[2:3], 3, s[8:9]
	s_lshl_b64 s[8:9], s[12:13], 13
.LBB29_4:                               ; =>This Inner Loop Header: Depth=1
	global_load_b64 v[8:9], v[2:3], off
	v_add_nc_u64_e32 v[4:5], 0x400, v[4:5]
	s_wait_xcnt 0x0
	v_add_nc_u64_e32 v[2:3], s[8:9], v[2:3]
	s_delay_alu instid0(VALU_DEP_2)
	v_cmp_le_i64_e32 vcc_lo, s[6:7], v[4:5]
	s_or_b32 s10, vcc_lo, s10
	s_wait_loadcnt 0x0
	ds_store_b64 v6, v[8:9]
	v_add_nc_u32_e32 v6, 0x2000, v6
	s_and_not1_b32 exec_lo, exec_lo, s10
	s_cbranch_execnz .LBB29_4
.LBB29_5:
	s_or_b32 exec_lo, exec_lo, s24
	s_bfe_u32 s8, ttmp6, 0x40010
	s_bfe_u32 s9, ttmp6, 0x40004
	s_add_co_i32 s8, s8, 1
	s_mov_b32 s21, 0
	s_mul_i32 s8, ttmp7, s8
	s_wait_dscnt 0x0
	s_add_co_i32 s9, s9, s8
	s_cmp_eq_u32 s3, 0
	s_barrier_signal -1
	s_cselect_b32 s20, ttmp7, s9
	s_barrier_wait -1
	v_cmp_le_i64_e64 s3, s[4:5], s[20:21]
	s_and_b32 vcc_lo, exec_lo, s3
	s_cbranch_vccnz .LBB29_25
; %bb.6:
	s_load_b256 s[8:15], s[0:1], 0x40
	s_mul_u64 s[18:19], s[18:19], s[22:23]
	v_dual_lshrrev_b32 v11, 2, v0 :: v_dual_bitop2_b32 v4, 31, v0 bitop3:0x40
	s_lshl_b64 s[24:25], s[18:19], 3
	v_mbcnt_lo_u32_b32 v12, -1, 0
	s_wait_xcnt 0x0
	v_cmp_gt_i32_e64 s0, s6, v0
	v_cmp_eq_u32_e64 s1, 0, v0
	v_dual_mov_b32 v13, 0x4008 :: v_dual_mov_b32 v30, 0
	v_mov_b32_e32 v14, 0x4018
	v_mov_b32_e32 v15, 0x4028
	;; [unrolled: 1-line block ×10, first 2 shown]
	s_wait_kmcnt 0x0
	v_mul_u64_e32 v[2:3], s[12:13], v[0:1]
	s_mul_u64 s[14:15], s[14:15], s[22:23]
	s_lshl_b64 s[10:11], s[10:11], 3
	s_lshl_b64 s[14:15], s[14:15], 3
	s_cmp_gt_i32 s6, 1
	v_mul_lo_u32 v29, v0, s12
	s_cselect_b32 s18, -1, 0
	s_lshl_b64 s[22:23], s[20:21], 3
	v_mov_b32_e32 v24, 0x40b8
	s_add_nc_u64 s[22:23], s[8:9], s[22:23]
	s_add_nc_u64 s[8:9], s[8:9], s[14:15]
	;; [unrolled: 1-line block ×3, first 2 shown]
	v_mov_b32_e32 v25, 0x40c8
	s_add_nc_u64 s[14:15], s[22:23], s[14:15]
	v_mov_b32_e32 v26, 0x40d8
	v_mov_b32_e32 v27, 0x40e8
	v_cmp_eq_u32_e64 s3, 0, v4
	v_lshl_or_b32 v28, v12, 2, 64
	s_add_nc_u64 s[8:9], s[8:9], s[10:11]
	s_add_nc_u64 s[10:11], s[16:17], s[24:25]
	s_lshl_b32 s16, s12, 10
	s_lshl_b64 s[12:13], s[12:13], 13
	v_lshl_add_u64 v[2:3], v[2:3], 3, s[14:15]
	s_branch .LBB29_8
.LBB29_7:                               ;   in Loop: Header=BB29_8 Depth=1
	s_or_b32 exec_lo, exec_lo, s14
	s_add_nc_u64 s[20:21], s[20:21], 64
	v_add_nc_u64_e32 v[2:3], 0x200, v[2:3]
	v_cmp_ge_i64_e64 s14, s[20:21], s[4:5]
	s_and_b32 vcc_lo, exec_lo, s14
	s_cbranch_vccnz .LBB29_25
.LBB29_8:                               ; =>This Loop Header: Depth=1
                                        ;     Child Loop BB29_10 Depth 2
                                        ;     Child Loop BB29_24 Depth 2
	v_mov_b64_e32 v[4:5], 0
	s_and_saveexec_b32 s17, s0
	s_cbranch_execz .LBB29_12
; %bb.9:                                ;   in Loop: Header=BB29_8 Depth=1
	v_mov_b64_e32 v[4:5], 0
	v_dual_mov_b32 v6, v29 :: v_dual_mov_b32 v7, v10
	v_mov_b32_e32 v8, v0
	s_lshl_b64 s[14:15], s[20:21], 3
	s_mov_b32 s19, 0
	s_add_nc_u64 s[14:15], s[8:9], s[14:15]
.LBB29_10:                              ;   Parent Loop BB29_8 Depth=1
                                        ; =>  This Inner Loop Header: Depth=2
	global_load_b64 v[32:33], v6, s[14:15] scale_offset
	ds_load_b64 v[34:35], v7
	v_add_nc_u32_e32 v8, 0x400, v8
	v_add_nc_u32_e32 v7, 0x2000, v7
	s_wait_xcnt 0x0
	v_add_nc_u32_e32 v6, s16, v6
	s_delay_alu instid0(VALU_DEP_3)
	v_cmp_le_i32_e32 vcc_lo, s6, v8
	s_or_b32 s19, vcc_lo, s19
	s_wait_loadcnt_dscnt 0x0
	v_fmac_f64_e32 v[4:5], v[34:35], v[32:33]
	s_and_not1_b32 exec_lo, exec_lo, s19
	s_cbranch_execnz .LBB29_10
; %bb.11:                               ;   in Loop: Header=BB29_8 Depth=1
	s_or_b32 exec_lo, exec_lo, s19
.LBB29_12:                              ;   in Loop: Header=BB29_8 Depth=1
	s_delay_alu instid0(SALU_CYCLE_1) | instskip(NEXT) | instid1(SALU_CYCLE_1)
	s_or_b32 exec_lo, exec_lo, s17
	s_and_b32 vcc_lo, exec_lo, s18
	s_cbranch_vccz .LBB29_19
; %bb.13:                               ;   in Loop: Header=BB29_8 Depth=1
	v_cmp_ne_u32_e32 vcc_lo, 31, v12
	v_add_co_ci_u32_e64 v6, null, 0, v12, vcc_lo
	v_cmp_gt_u32_e32 vcc_lo, 30, v12
	s_delay_alu instid0(VALU_DEP_2)
	v_lshlrev_b32_e32 v7, 2, v6
	v_cndmask_b32_e64 v8, 0, 2, vcc_lo
	v_cmp_gt_u32_e32 vcc_lo, 28, v12
	ds_bpermute_b32 v6, v7, v4
	ds_bpermute_b32 v7, v7, v5
	v_add_lshl_u32 v9, v8, v12, 2
	s_wait_dscnt 0x0
	v_add_f64_e32 v[6:7], v[4:5], v[6:7]
	ds_bpermute_b32 v8, v9, v6
	ds_bpermute_b32 v9, v9, v7
	s_wait_dscnt 0x0
	v_add_f64_e32 v[6:7], v[6:7], v[8:9]
	v_cndmask_b32_e64 v8, 0, 4, vcc_lo
	v_cmp_gt_u32_e32 vcc_lo, 24, v12
	s_delay_alu instid0(VALU_DEP_2)
	v_add_lshl_u32 v9, v8, v12, 2
	ds_bpermute_b32 v8, v9, v6
	ds_bpermute_b32 v9, v9, v7
	s_wait_dscnt 0x0
	v_add_f64_e32 v[6:7], v[6:7], v[8:9]
	v_cndmask_b32_e64 v8, 0, 8, vcc_lo
	s_delay_alu instid0(VALU_DEP_1)
	v_add_lshl_u32 v9, v8, v12, 2
	ds_bpermute_b32 v8, v9, v6
	ds_bpermute_b32 v9, v9, v7
	s_wait_dscnt 0x0
	v_add_f64_e32 v[6:7], v[6:7], v[8:9]
	ds_bpermute_b32 v8, v28, v6
	ds_bpermute_b32 v9, v28, v7
	s_wait_dscnt 0x0
	v_add_f64_e32 v[6:7], v[6:7], v[8:9]
	s_and_saveexec_b32 s14, s3
; %bb.14:                               ;   in Loop: Header=BB29_8 Depth=1
	ds_store_b64 v11, v[6:7] offset:16384
; %bb.15:                               ;   in Loop: Header=BB29_8 Depth=1
	s_or_b32 exec_lo, exec_lo, s14
	s_mov_b32 s15, 0
	s_mov_b32 s14, 0
	s_wait_dscnt 0x0
	s_barrier_signal -1
	s_barrier_wait -1
                                        ; implicit-def: $vgpr8_vgpr9
	s_and_saveexec_b32 s17, s1
	s_delay_alu instid0(SALU_CYCLE_1)
	s_xor_b32 s17, exec_lo, s17
	s_cbranch_execz .LBB29_17
; %bb.16:                               ;   in Loop: Header=BB29_8 Depth=1
	ds_load_2addr_b64 v[32:35], v13 offset1:1
	ds_load_2addr_b64 v[36:39], v14 offset1:1
	s_mov_b32 s14, exec_lo
	s_wait_dscnt 0x1
	v_add_f64_e32 v[6:7], v[6:7], v[32:33]
	s_delay_alu instid0(VALU_DEP_1) | instskip(SKIP_1) | instid1(VALU_DEP_1)
	v_add_f64_e32 v[6:7], v[6:7], v[34:35]
	s_wait_dscnt 0x0
	v_add_f64_e32 v[6:7], v[6:7], v[36:37]
	s_delay_alu instid0(VALU_DEP_1) | instskip(SKIP_4) | instid1(VALU_DEP_1)
	v_add_f64_e32 v[36:37], v[6:7], v[38:39]
	ds_load_2addr_b64 v[6:9], v15 offset1:1
	ds_load_2addr_b64 v[32:35], v16 offset1:1
	s_wait_dscnt 0x1
	v_add_f64_e32 v[6:7], v[36:37], v[6:7]
	v_add_f64_e32 v[6:7], v[6:7], v[8:9]
	s_wait_dscnt 0x0
	s_delay_alu instid0(VALU_DEP_1) | instskip(NEXT) | instid1(VALU_DEP_1)
	v_add_f64_e32 v[6:7], v[6:7], v[32:33]
	v_add_f64_e32 v[36:37], v[6:7], v[34:35]
	ds_load_2addr_b64 v[6:9], v17 offset1:1
	ds_load_2addr_b64 v[32:35], v18 offset1:1
	s_wait_dscnt 0x1
	v_add_f64_e32 v[6:7], v[36:37], v[6:7]
	s_delay_alu instid0(VALU_DEP_1) | instskip(SKIP_1) | instid1(VALU_DEP_1)
	v_add_f64_e32 v[6:7], v[6:7], v[8:9]
	s_wait_dscnt 0x0
	v_add_f64_e32 v[6:7], v[6:7], v[32:33]
	s_delay_alu instid0(VALU_DEP_1) | instskip(SKIP_4) | instid1(VALU_DEP_1)
	v_add_f64_e32 v[36:37], v[6:7], v[34:35]
	ds_load_2addr_b64 v[6:9], v19 offset1:1
	ds_load_2addr_b64 v[32:35], v20 offset1:1
	s_wait_dscnt 0x1
	v_add_f64_e32 v[6:7], v[36:37], v[6:7]
	v_add_f64_e32 v[6:7], v[6:7], v[8:9]
	s_wait_dscnt 0x0
	s_delay_alu instid0(VALU_DEP_1) | instskip(NEXT) | instid1(VALU_DEP_1)
	v_add_f64_e32 v[6:7], v[6:7], v[32:33]
	v_add_f64_e32 v[36:37], v[6:7], v[34:35]
	ds_load_2addr_b64 v[6:9], v21 offset1:1
	ds_load_2addr_b64 v[32:35], v22 offset1:1
	;; [unrolled: 19-line block ×3, first 2 shown]
	s_wait_dscnt 0x1
	v_add_f64_e32 v[6:7], v[36:37], v[6:7]
	s_delay_alu instid0(VALU_DEP_1) | instskip(SKIP_1) | instid1(VALU_DEP_1)
	v_add_f64_e32 v[6:7], v[6:7], v[8:9]
	s_wait_dscnt 0x0
	v_add_f64_e32 v[6:7], v[6:7], v[32:33]
	s_delay_alu instid0(VALU_DEP_1) | instskip(SKIP_4) | instid1(VALU_DEP_1)
	v_add_f64_e32 v[32:33], v[6:7], v[34:35]
	ds_load_2addr_b64 v[6:9], v27 offset1:1
	ds_load_b64 v[34:35], v30 offset:16632
	s_wait_dscnt 0x1
	v_add_f64_e32 v[6:7], v[32:33], v[6:7]
	v_add_f64_e32 v[6:7], v[6:7], v[8:9]
	s_wait_dscnt 0x0
	s_delay_alu instid0(VALU_DEP_1)
	v_add_f64_e32 v[8:9], v[6:7], v[34:35]
.LBB29_17:                              ;   in Loop: Header=BB29_8 Depth=1
	s_or_b32 exec_lo, exec_lo, s17
	s_delay_alu instid0(SALU_CYCLE_1)
	s_and_b32 vcc_lo, exec_lo, s15
	s_cbranch_vccnz .LBB29_20
.LBB29_18:                              ;   in Loop: Header=BB29_8 Depth=1
	s_delay_alu instid0(VALU_DEP_1)
	v_mov_b64_e32 v[4:5], v[8:9]
	s_and_saveexec_b32 s15, s14
	s_cbranch_execnz .LBB29_21
	s_branch .LBB29_22
.LBB29_19:                              ;   in Loop: Header=BB29_8 Depth=1
	s_mov_b32 s14, 0
                                        ; implicit-def: $vgpr8_vgpr9
	s_cbranch_execz .LBB29_18
.LBB29_20:                              ;   in Loop: Header=BB29_8 Depth=1
	s_and_not1_b32 s14, s14, exec_lo
	s_and_b32 s15, s1, exec_lo
	s_delay_alu instid0(SALU_CYCLE_1) | instskip(NEXT) | instid1(SALU_CYCLE_1)
	s_or_b32 s14, s14, s15
	s_and_saveexec_b32 s15, s14
.LBB29_21:                              ;   in Loop: Header=BB29_8 Depth=1
	ds_store_b64 v30, v[4:5] offset:16384
.LBB29_22:                              ;   in Loop: Header=BB29_8 Depth=1
	s_or_b32 exec_lo, exec_lo, s15
	s_wait_dscnt 0x0
	s_barrier_signal -1
	s_barrier_wait -1
	s_and_saveexec_b32 s14, s2
	s_cbranch_execz .LBB29_7
; %bb.23:                               ;   in Loop: Header=BB29_8 Depth=1
	global_load_b64 v[4:5], v30, s[10:11]
	ds_load_b64 v[6:7], v30 offset:16384
	v_mov_b64_e32 v[8:9], v[0:1]
	v_mov_b32_e32 v31, v10
	s_mov_b32 s15, 0
	s_wait_loadcnt_dscnt 0x0
	v_mul_f64_e64 v[4:5], v[6:7], -v[4:5]
	v_mov_b64_e32 v[6:7], v[2:3]
.LBB29_24:                              ;   Parent Loop BB29_8 Depth=1
                                        ; =>  This Inner Loop Header: Depth=2
	global_load_b64 v[32:33], v[6:7], off
	ds_load_b64 v[34:35], v31
	v_add_nc_u64_e32 v[8:9], 0x400, v[8:9]
	v_add_nc_u32_e32 v31, 0x2000, v31
	s_delay_alu instid0(VALU_DEP_2)
	v_cmp_le_i64_e32 vcc_lo, s[6:7], v[8:9]
	s_or_b32 s15, vcc_lo, s15
	s_wait_loadcnt_dscnt 0x0
	v_fmac_f64_e32 v[32:33], v[4:5], v[34:35]
	global_store_b64 v[6:7], v[32:33], off
	s_wait_xcnt 0x0
	v_add_nc_u64_e32 v[6:7], s[12:13], v[6:7]
	s_and_not1_b32 exec_lo, exec_lo, s15
	s_cbranch_execnz .LBB29_24
	s_branch .LBB29_7
.LBB29_25:
	s_endpgm
	.section	.rodata,"a",@progbits
	.p2align	6, 0x0
	.amdhsa_kernel _ZN9rocsolver6v33100L23larf_right_kernel_smallILi1024EdlPdEEvT1_S3_T2_lS3_lPKT0_lS4_lS3_l
		.amdhsa_group_segment_fixed_size 16640
		.amdhsa_private_segment_fixed_size 0
		.amdhsa_kernarg_size 96
		.amdhsa_user_sgpr_count 2
		.amdhsa_user_sgpr_dispatch_ptr 0
		.amdhsa_user_sgpr_queue_ptr 0
		.amdhsa_user_sgpr_kernarg_segment_ptr 1
		.amdhsa_user_sgpr_dispatch_id 0
		.amdhsa_user_sgpr_kernarg_preload_length 0
		.amdhsa_user_sgpr_kernarg_preload_offset 0
		.amdhsa_user_sgpr_private_segment_size 0
		.amdhsa_wavefront_size32 1
		.amdhsa_uses_dynamic_stack 0
		.amdhsa_enable_private_segment 0
		.amdhsa_system_sgpr_workgroup_id_x 1
		.amdhsa_system_sgpr_workgroup_id_y 1
		.amdhsa_system_sgpr_workgroup_id_z 0
		.amdhsa_system_sgpr_workgroup_info 0
		.amdhsa_system_vgpr_workitem_id 0
		.amdhsa_next_free_vgpr 40
		.amdhsa_next_free_sgpr 26
		.amdhsa_named_barrier_count 0
		.amdhsa_reserve_vcc 1
		.amdhsa_float_round_mode_32 0
		.amdhsa_float_round_mode_16_64 0
		.amdhsa_float_denorm_mode_32 3
		.amdhsa_float_denorm_mode_16_64 3
		.amdhsa_fp16_overflow 0
		.amdhsa_memory_ordered 1
		.amdhsa_forward_progress 1
		.amdhsa_inst_pref_size 13
		.amdhsa_round_robin_scheduling 0
		.amdhsa_exception_fp_ieee_invalid_op 0
		.amdhsa_exception_fp_denorm_src 0
		.amdhsa_exception_fp_ieee_div_zero 0
		.amdhsa_exception_fp_ieee_overflow 0
		.amdhsa_exception_fp_ieee_underflow 0
		.amdhsa_exception_fp_ieee_inexact 0
		.amdhsa_exception_int_div_zero 0
	.end_amdhsa_kernel
	.section	.text._ZN9rocsolver6v33100L23larf_right_kernel_smallILi1024EdlPdEEvT1_S3_T2_lS3_lPKT0_lS4_lS3_l,"axG",@progbits,_ZN9rocsolver6v33100L23larf_right_kernel_smallILi1024EdlPdEEvT1_S3_T2_lS3_lPKT0_lS4_lS3_l,comdat
.Lfunc_end29:
	.size	_ZN9rocsolver6v33100L23larf_right_kernel_smallILi1024EdlPdEEvT1_S3_T2_lS3_lPKT0_lS4_lS3_l, .Lfunc_end29-_ZN9rocsolver6v33100L23larf_right_kernel_smallILi1024EdlPdEEvT1_S3_T2_lS3_lPKT0_lS4_lS3_l
                                        ; -- End function
	.set _ZN9rocsolver6v33100L23larf_right_kernel_smallILi1024EdlPdEEvT1_S3_T2_lS3_lPKT0_lS4_lS3_l.num_vgpr, 40
	.set _ZN9rocsolver6v33100L23larf_right_kernel_smallILi1024EdlPdEEvT1_S3_T2_lS3_lPKT0_lS4_lS3_l.num_agpr, 0
	.set _ZN9rocsolver6v33100L23larf_right_kernel_smallILi1024EdlPdEEvT1_S3_T2_lS3_lPKT0_lS4_lS3_l.numbered_sgpr, 26
	.set _ZN9rocsolver6v33100L23larf_right_kernel_smallILi1024EdlPdEEvT1_S3_T2_lS3_lPKT0_lS4_lS3_l.num_named_barrier, 0
	.set _ZN9rocsolver6v33100L23larf_right_kernel_smallILi1024EdlPdEEvT1_S3_T2_lS3_lPKT0_lS4_lS3_l.private_seg_size, 0
	.set _ZN9rocsolver6v33100L23larf_right_kernel_smallILi1024EdlPdEEvT1_S3_T2_lS3_lPKT0_lS4_lS3_l.uses_vcc, 1
	.set _ZN9rocsolver6v33100L23larf_right_kernel_smallILi1024EdlPdEEvT1_S3_T2_lS3_lPKT0_lS4_lS3_l.uses_flat_scratch, 0
	.set _ZN9rocsolver6v33100L23larf_right_kernel_smallILi1024EdlPdEEvT1_S3_T2_lS3_lPKT0_lS4_lS3_l.has_dyn_sized_stack, 0
	.set _ZN9rocsolver6v33100L23larf_right_kernel_smallILi1024EdlPdEEvT1_S3_T2_lS3_lPKT0_lS4_lS3_l.has_recursion, 0
	.set _ZN9rocsolver6v33100L23larf_right_kernel_smallILi1024EdlPdEEvT1_S3_T2_lS3_lPKT0_lS4_lS3_l.has_indirect_call, 0
	.section	.AMDGPU.csdata,"",@progbits
; Kernel info:
; codeLenInByte = 1620
; TotalNumSgprs: 28
; NumVgprs: 40
; ScratchSize: 0
; MemoryBound: 0
; FloatMode: 240
; IeeeMode: 1
; LDSByteSize: 16640 bytes/workgroup (compile time only)
; SGPRBlocks: 0
; VGPRBlocks: 2
; NumSGPRsForWavesPerEU: 28
; NumVGPRsForWavesPerEU: 40
; NamedBarCnt: 0
; Occupancy: 16
; WaveLimiterHint : 0
; COMPUTE_PGM_RSRC2:SCRATCH_EN: 0
; COMPUTE_PGM_RSRC2:USER_SGPR: 2
; COMPUTE_PGM_RSRC2:TRAP_HANDLER: 0
; COMPUTE_PGM_RSRC2:TGID_X_EN: 1
; COMPUTE_PGM_RSRC2:TGID_Y_EN: 1
; COMPUTE_PGM_RSRC2:TGID_Z_EN: 0
; COMPUTE_PGM_RSRC2:TIDIG_COMP_CNT: 0
	.section	.text._ZN9rocsolver6v33100L22larf_left_kernel_smallILi64EdlPKPdEEvT1_S5_T2_lS5_lPKT0_lS6_lS5_l,"axG",@progbits,_ZN9rocsolver6v33100L22larf_left_kernel_smallILi64EdlPKPdEEvT1_S5_T2_lS5_lPKT0_lS6_lS5_l,comdat
	.globl	_ZN9rocsolver6v33100L22larf_left_kernel_smallILi64EdlPKPdEEvT1_S5_T2_lS5_lPKT0_lS6_lS5_l ; -- Begin function _ZN9rocsolver6v33100L22larf_left_kernel_smallILi64EdlPKPdEEvT1_S5_T2_lS5_lPKT0_lS6_lS5_l
	.p2align	8
	.type	_ZN9rocsolver6v33100L22larf_left_kernel_smallILi64EdlPKPdEEvT1_S5_T2_lS5_lPKT0_lS6_lS5_l,@function
_ZN9rocsolver6v33100L22larf_left_kernel_smallILi64EdlPKPdEEvT1_S5_T2_lS5_lPKT0_lS6_lS5_l: ; @_ZN9rocsolver6v33100L22larf_left_kernel_smallILi64EdlPKPdEEvT1_S5_T2_lS5_lPKT0_lS6_lS5_l
; %bb.0:
	s_clause 0x3
	s_load_b64 s[22:23], s[0:1], 0x20
	s_load_b256 s[4:11], s[0:1], 0x0
	s_load_b256 s[12:19], s[0:1], 0x30
	s_load_b64 s[20:21], s[0:1], 0x50
	s_wait_xcnt 0x0
	s_bfe_u32 s0, ttmp6, 0x4000c
	s_and_b32 s2, ttmp6, 15
	s_add_co_i32 s0, s0, 1
	s_getreg_b32 s1, hwreg(HW_REG_IB_STS2, 6, 4)
	s_mul_i32 s0, ttmp9, s0
	s_mov_b32 s3, 0
	s_add_co_i32 s2, s2, s0
	s_cmp_eq_u32 s1, 0
	s_cselect_b32 s2, ttmp9, s2
	s_wait_kmcnt 0x0
	v_cmp_gt_i64_e64 s24, s[22:23], 0
	s_and_b32 vcc_lo, exec_lo, s24
	s_mov_b64 s[24:25], 0
	s_cbranch_vccnz .LBB30_2
; %bb.1:
	s_sub_nc_u64 s[24:25], 1, s[4:5]
	s_delay_alu instid0(SALU_CYCLE_1)
	s_mul_u64 s[24:25], s[22:23], s[24:25]
.LBB30_2:
	s_load_b64 s[16:17], s[16:17], s2 offset:0x0 scale_offset
	v_dual_mov_b32 v1, 0 :: v_dual_lshlrev_b32 v12, 3, v0
	s_delay_alu instid0(VALU_DEP_1)
	v_cmp_gt_i64_e64 s0, s[4:5], v[0:1]
	s_and_saveexec_b32 s26, s0
	s_cbranch_execz .LBB30_5
; %bb.3:
	v_mul_u64_e32 v[2:3], s[22:23], v[0:1]
	s_load_b64 s[8:9], s[8:9], s2 offset:0x0 scale_offset
	s_lshl_b64 s[10:11], s[10:11], 3
	s_lshl_b64 s[24:25], s[24:25], 3
	v_mov_b64_e32 v[4:5], v[0:1]
	v_lshlrev_b32_e32 v6, 3, v0
	s_wait_kmcnt 0x0
	s_add_nc_u64 s[8:9], s[8:9], s[10:11]
	s_mov_b32 s10, 0
	s_add_nc_u64 s[8:9], s[8:9], s[24:25]
	s_delay_alu instid0(VALU_DEP_3) | instid1(SALU_CYCLE_1)
	v_lshl_add_u64 v[2:3], v[2:3], 3, s[8:9]
	s_lshl_b64 s[8:9], s[22:23], 9
.LBB30_4:                               ; =>This Inner Loop Header: Depth=1
	flat_load_b64 v[8:9], v[2:3]
	v_add_nc_u64_e32 v[4:5], 64, v[4:5]
	s_wait_xcnt 0x0
	v_add_nc_u64_e32 v[2:3], s[8:9], v[2:3]
	s_delay_alu instid0(VALU_DEP_2)
	v_cmp_le_i64_e32 vcc_lo, s[4:5], v[4:5]
	s_or_b32 s10, vcc_lo, s10
	s_wait_loadcnt_dscnt 0x0
	ds_store_b64 v6, v[8:9]
	v_add_nc_u32_e32 v6, 0x200, v6
	s_and_not1_b32 exec_lo, exec_lo, s10
	s_cbranch_execnz .LBB30_4
.LBB30_5:
	s_or_b32 exec_lo, exec_lo, s26
	s_bfe_u32 s8, ttmp6, 0x40010
	s_bfe_u32 s9, ttmp6, 0x40004
	s_add_co_i32 s8, s8, 1
	s_wait_dscnt 0x0
	s_mul_i32 s8, ttmp7, s8
	s_barrier_signal -1
	s_add_co_i32 s8, s9, s8
	s_cmp_eq_u32 s1, 0
	s_mov_b32 s9, 0
	s_cselect_b32 s8, ttmp7, s8
	s_barrier_wait -1
	v_cmp_le_i64_e64 s1, s[6:7], s[8:9]
	s_and_b32 vcc_lo, exec_lo, s1
	s_cbranch_vccnz .LBB30_25
; %bb.6:
	s_wait_xcnt 0x0
	s_mul_u64 s[2:3], s[14:15], s[2:3]
	v_dual_mov_b32 v3, 0 :: v_dual_bitop2_b32 v2, 31, v0 bitop3:0x40
	s_lshl_b64 s[10:11], s[2:3], 3
	s_cmp_gt_i32 s4, 1
	s_mul_u64 s[22:23], s[20:21], s[8:9]
	s_cselect_b32 s14, -1, 0
	s_lshl_b64 s[22:23], s[22:23], 3
	s_lshl_b64 s[18:19], s[18:19], 3
	v_cmp_eq_u32_e64 s2, 0, v2
	v_dual_lshlrev_b32 v2, 3, v0 :: v_dual_lshrrev_b32 v14, 2, v0
	s_add_nc_u64 s[18:19], s[22:23], s[18:19]
	v_mbcnt_lo_u32_b32 v13, -1, 0
	s_wait_kmcnt 0x0
	s_add_nc_u64 s[16:17], s[16:17], s[18:19]
	v_cmp_gt_i32_e64 s1, s4, v0
	v_add_nc_u64_e32 v[4:5], s[16:17], v[2:3]
	v_cmp_eq_u32_e64 s3, 0, v0
	v_lshl_or_b32 v2, v13, 2, 64
	s_add_nc_u64 s[10:11], s[12:13], s[10:11]
	s_lshl_b64 s[12:13], s[20:21], 9
	s_branch .LBB30_8
.LBB30_7:                               ;   in Loop: Header=BB30_8 Depth=1
	s_or_b32 exec_lo, exec_lo, s15
	s_add_nc_u64 s[8:9], s[8:9], 64
	v_add_nc_u64_e32 v[4:5], s[12:13], v[4:5]
	v_cmp_ge_i64_e64 s15, s[8:9], s[6:7]
	s_and_b32 vcc_lo, exec_lo, s15
	s_cbranch_vccnz .LBB30_25
.LBB30_8:                               ; =>This Loop Header: Depth=1
                                        ;     Child Loop BB30_10 Depth 2
                                        ;     Child Loop BB30_24 Depth 2
	v_mov_b64_e32 v[6:7], 0
	s_and_saveexec_b32 s15, s1
	s_cbranch_execz .LBB30_12
; %bb.9:                                ;   in Loop: Header=BB30_8 Depth=1
	v_mov_b64_e32 v[6:7], 0
	v_mov_b64_e32 v[8:9], v[4:5]
	v_dual_mov_b32 v10, v12 :: v_dual_mov_b32 v11, v0
	s_mov_b32 s16, 0
.LBB30_10:                              ;   Parent Loop BB30_8 Depth=1
                                        ; =>  This Inner Loop Header: Depth=2
	flat_load_b64 v[16:17], v[8:9]
	ds_load_b64 v[18:19], v10
	v_add_nc_u32_e32 v11, 64, v11
	s_wait_xcnt 0x0
	v_add_nc_u64_e32 v[8:9], 0x200, v[8:9]
	v_add_nc_u32_e32 v10, 0x200, v10
	s_delay_alu instid0(VALU_DEP_3)
	v_cmp_le_i32_e32 vcc_lo, s4, v11
	s_or_b32 s16, vcc_lo, s16
	s_wait_loadcnt_dscnt 0x0
	v_fmac_f64_e32 v[6:7], v[18:19], v[16:17]
	s_and_not1_b32 exec_lo, exec_lo, s16
	s_cbranch_execnz .LBB30_10
; %bb.11:                               ;   in Loop: Header=BB30_8 Depth=1
	s_or_b32 exec_lo, exec_lo, s16
.LBB30_12:                              ;   in Loop: Header=BB30_8 Depth=1
	s_delay_alu instid0(SALU_CYCLE_1) | instskip(NEXT) | instid1(SALU_CYCLE_1)
	s_or_b32 exec_lo, exec_lo, s15
	s_and_b32 vcc_lo, exec_lo, s14
	s_cbranch_vccz .LBB30_19
; %bb.13:                               ;   in Loop: Header=BB30_8 Depth=1
	v_cmp_ne_u32_e32 vcc_lo, 31, v13
	v_add_co_ci_u32_e64 v8, null, 0, v13, vcc_lo
	v_cmp_gt_u32_e32 vcc_lo, 30, v13
	s_delay_alu instid0(VALU_DEP_2)
	v_lshlrev_b32_e32 v9, 2, v8
	v_cndmask_b32_e64 v10, 0, 2, vcc_lo
	v_cmp_gt_u32_e32 vcc_lo, 28, v13
	ds_bpermute_b32 v8, v9, v6
	ds_bpermute_b32 v9, v9, v7
	v_add_lshl_u32 v11, v10, v13, 2
	s_wait_dscnt 0x0
	v_add_f64_e32 v[8:9], v[6:7], v[8:9]
	ds_bpermute_b32 v10, v11, v8
	ds_bpermute_b32 v11, v11, v9
	s_wait_dscnt 0x0
	v_add_f64_e32 v[8:9], v[8:9], v[10:11]
	v_cndmask_b32_e64 v10, 0, 4, vcc_lo
	v_cmp_gt_u32_e32 vcc_lo, 24, v13
	s_delay_alu instid0(VALU_DEP_2)
	v_add_lshl_u32 v11, v10, v13, 2
	ds_bpermute_b32 v10, v11, v8
	ds_bpermute_b32 v11, v11, v9
	s_wait_dscnt 0x0
	v_add_f64_e32 v[8:9], v[8:9], v[10:11]
	v_cndmask_b32_e64 v10, 0, 8, vcc_lo
	s_delay_alu instid0(VALU_DEP_1)
	v_add_lshl_u32 v11, v10, v13, 2
	ds_bpermute_b32 v10, v11, v8
	ds_bpermute_b32 v11, v11, v9
	s_wait_dscnt 0x0
	v_add_f64_e32 v[8:9], v[8:9], v[10:11]
	ds_bpermute_b32 v10, v2, v8
	ds_bpermute_b32 v11, v2, v9
	s_wait_dscnt 0x0
	v_add_f64_e32 v[10:11], v[8:9], v[10:11]
	s_and_saveexec_b32 s15, s2
; %bb.14:                               ;   in Loop: Header=BB30_8 Depth=1
	ds_store_b64 v14, v[10:11] offset:16384
; %bb.15:                               ;   in Loop: Header=BB30_8 Depth=1
	s_or_b32 exec_lo, exec_lo, s15
	s_mov_b32 s16, 0
	s_mov_b32 s15, 0
	s_wait_dscnt 0x0
	s_barrier_signal -1
	s_barrier_wait -1
                                        ; implicit-def: $vgpr8_vgpr9
	s_and_saveexec_b32 s17, s3
	s_delay_alu instid0(SALU_CYCLE_1)
	s_xor_b32 s17, exec_lo, s17
	s_cbranch_execz .LBB30_17
; %bb.16:                               ;   in Loop: Header=BB30_8 Depth=1
	ds_load_b64 v[8:9], v3 offset:16392
	s_mov_b32 s15, exec_lo
	s_wait_dscnt 0x0
	v_add_f64_e32 v[8:9], v[10:11], v[8:9]
.LBB30_17:                              ;   in Loop: Header=BB30_8 Depth=1
	s_or_b32 exec_lo, exec_lo, s17
	s_delay_alu instid0(SALU_CYCLE_1)
	s_and_b32 vcc_lo, exec_lo, s16
	s_cbranch_vccnz .LBB30_20
.LBB30_18:                              ;   in Loop: Header=BB30_8 Depth=1
	s_delay_alu instid0(VALU_DEP_1)
	v_mov_b64_e32 v[6:7], v[8:9]
	s_and_saveexec_b32 s16, s15
	s_cbranch_execnz .LBB30_21
	s_branch .LBB30_22
.LBB30_19:                              ;   in Loop: Header=BB30_8 Depth=1
	s_mov_b32 s15, 0
                                        ; implicit-def: $vgpr8_vgpr9
	s_cbranch_execz .LBB30_18
.LBB30_20:                              ;   in Loop: Header=BB30_8 Depth=1
	s_and_not1_b32 s15, s15, exec_lo
	s_and_b32 s16, s3, exec_lo
	s_delay_alu instid0(SALU_CYCLE_1) | instskip(NEXT) | instid1(SALU_CYCLE_1)
	s_or_b32 s15, s15, s16
	s_and_saveexec_b32 s16, s15
.LBB30_21:                              ;   in Loop: Header=BB30_8 Depth=1
	ds_store_b64 v3, v[6:7] offset:16384
.LBB30_22:                              ;   in Loop: Header=BB30_8 Depth=1
	s_or_b32 exec_lo, exec_lo, s16
	s_wait_dscnt 0x0
	s_barrier_signal -1
	s_barrier_wait -1
	s_and_saveexec_b32 s15, s0
	s_cbranch_execz .LBB30_7
; %bb.23:                               ;   in Loop: Header=BB30_8 Depth=1
	global_load_b64 v[6:7], v3, s[10:11]
	ds_load_b64 v[8:9], v3 offset:16384
	v_mov_b64_e32 v[10:11], v[0:1]
	v_mov_b32_e32 v15, v12
	s_mov_b32 s16, 0
	s_wait_loadcnt_dscnt 0x0
	v_mul_f64_e64 v[6:7], v[8:9], -v[6:7]
	v_mov_b64_e32 v[8:9], v[4:5]
.LBB30_24:                              ;   Parent Loop BB30_8 Depth=1
                                        ; =>  This Inner Loop Header: Depth=2
	flat_load_b64 v[16:17], v[8:9]
	ds_load_b64 v[18:19], v15
	v_add_nc_u64_e32 v[10:11], 64, v[10:11]
	v_add_nc_u32_e32 v15, 0x200, v15
	s_delay_alu instid0(VALU_DEP_2)
	v_cmp_le_i64_e32 vcc_lo, s[4:5], v[10:11]
	s_or_b32 s16, vcc_lo, s16
	s_wait_loadcnt_dscnt 0x0
	v_fmac_f64_e32 v[16:17], v[6:7], v[18:19]
	flat_store_b64 v[8:9], v[16:17]
	s_wait_xcnt 0x0
	v_add_nc_u64_e32 v[8:9], 0x200, v[8:9]
	s_and_not1_b32 exec_lo, exec_lo, s16
	s_cbranch_execnz .LBB30_24
	s_branch .LBB30_7
.LBB30_25:
	s_endpgm
	.section	.rodata,"a",@progbits
	.p2align	6, 0x0
	.amdhsa_kernel _ZN9rocsolver6v33100L22larf_left_kernel_smallILi64EdlPKPdEEvT1_S5_T2_lS5_lPKT0_lS6_lS5_l
		.amdhsa_group_segment_fixed_size 16896
		.amdhsa_private_segment_fixed_size 0
		.amdhsa_kernarg_size 96
		.amdhsa_user_sgpr_count 2
		.amdhsa_user_sgpr_dispatch_ptr 0
		.amdhsa_user_sgpr_queue_ptr 0
		.amdhsa_user_sgpr_kernarg_segment_ptr 1
		.amdhsa_user_sgpr_dispatch_id 0
		.amdhsa_user_sgpr_kernarg_preload_length 0
		.amdhsa_user_sgpr_kernarg_preload_offset 0
		.amdhsa_user_sgpr_private_segment_size 0
		.amdhsa_wavefront_size32 1
		.amdhsa_uses_dynamic_stack 0
		.amdhsa_enable_private_segment 0
		.amdhsa_system_sgpr_workgroup_id_x 1
		.amdhsa_system_sgpr_workgroup_id_y 1
		.amdhsa_system_sgpr_workgroup_id_z 0
		.amdhsa_system_sgpr_workgroup_info 0
		.amdhsa_system_vgpr_workitem_id 0
		.amdhsa_next_free_vgpr 113
		.amdhsa_next_free_sgpr 27
		.amdhsa_named_barrier_count 0
		.amdhsa_reserve_vcc 1
		.amdhsa_float_round_mode_32 0
		.amdhsa_float_round_mode_16_64 0
		.amdhsa_float_denorm_mode_32 3
		.amdhsa_float_denorm_mode_16_64 3
		.amdhsa_fp16_overflow 0
		.amdhsa_memory_ordered 1
		.amdhsa_forward_progress 1
		.amdhsa_inst_pref_size 9
		.amdhsa_round_robin_scheduling 0
		.amdhsa_exception_fp_ieee_invalid_op 0
		.amdhsa_exception_fp_denorm_src 0
		.amdhsa_exception_fp_ieee_div_zero 0
		.amdhsa_exception_fp_ieee_overflow 0
		.amdhsa_exception_fp_ieee_underflow 0
		.amdhsa_exception_fp_ieee_inexact 0
		.amdhsa_exception_int_div_zero 0
	.end_amdhsa_kernel
	.section	.text._ZN9rocsolver6v33100L22larf_left_kernel_smallILi64EdlPKPdEEvT1_S5_T2_lS5_lPKT0_lS6_lS5_l,"axG",@progbits,_ZN9rocsolver6v33100L22larf_left_kernel_smallILi64EdlPKPdEEvT1_S5_T2_lS5_lPKT0_lS6_lS5_l,comdat
.Lfunc_end30:
	.size	_ZN9rocsolver6v33100L22larf_left_kernel_smallILi64EdlPKPdEEvT1_S5_T2_lS5_lPKT0_lS6_lS5_l, .Lfunc_end30-_ZN9rocsolver6v33100L22larf_left_kernel_smallILi64EdlPKPdEEvT1_S5_T2_lS5_lPKT0_lS6_lS5_l
                                        ; -- End function
	.set _ZN9rocsolver6v33100L22larf_left_kernel_smallILi64EdlPKPdEEvT1_S5_T2_lS5_lPKT0_lS6_lS5_l.num_vgpr, 20
	.set _ZN9rocsolver6v33100L22larf_left_kernel_smallILi64EdlPKPdEEvT1_S5_T2_lS5_lPKT0_lS6_lS5_l.num_agpr, 0
	.set _ZN9rocsolver6v33100L22larf_left_kernel_smallILi64EdlPKPdEEvT1_S5_T2_lS5_lPKT0_lS6_lS5_l.numbered_sgpr, 27
	.set _ZN9rocsolver6v33100L22larf_left_kernel_smallILi64EdlPKPdEEvT1_S5_T2_lS5_lPKT0_lS6_lS5_l.num_named_barrier, 0
	.set _ZN9rocsolver6v33100L22larf_left_kernel_smallILi64EdlPKPdEEvT1_S5_T2_lS5_lPKT0_lS6_lS5_l.private_seg_size, 0
	.set _ZN9rocsolver6v33100L22larf_left_kernel_smallILi64EdlPKPdEEvT1_S5_T2_lS5_lPKT0_lS6_lS5_l.uses_vcc, 1
	.set _ZN9rocsolver6v33100L22larf_left_kernel_smallILi64EdlPKPdEEvT1_S5_T2_lS5_lPKT0_lS6_lS5_l.uses_flat_scratch, 0
	.set _ZN9rocsolver6v33100L22larf_left_kernel_smallILi64EdlPKPdEEvT1_S5_T2_lS5_lPKT0_lS6_lS5_l.has_dyn_sized_stack, 0
	.set _ZN9rocsolver6v33100L22larf_left_kernel_smallILi64EdlPKPdEEvT1_S5_T2_lS5_lPKT0_lS6_lS5_l.has_recursion, 0
	.set _ZN9rocsolver6v33100L22larf_left_kernel_smallILi64EdlPKPdEEvT1_S5_T2_lS5_lPKT0_lS6_lS5_l.has_indirect_call, 0
	.section	.AMDGPU.csdata,"",@progbits
; Kernel info:
; codeLenInByte = 1140
; TotalNumSgprs: 29
; NumVgprs: 20
; ScratchSize: 0
; MemoryBound: 0
; FloatMode: 240
; IeeeMode: 1
; LDSByteSize: 16896 bytes/workgroup (compile time only)
; SGPRBlocks: 0
; VGPRBlocks: 7
; NumSGPRsForWavesPerEU: 29
; NumVGPRsForWavesPerEU: 113
; NamedBarCnt: 0
; Occupancy: 8
; WaveLimiterHint : 0
; COMPUTE_PGM_RSRC2:SCRATCH_EN: 0
; COMPUTE_PGM_RSRC2:USER_SGPR: 2
; COMPUTE_PGM_RSRC2:TRAP_HANDLER: 0
; COMPUTE_PGM_RSRC2:TGID_X_EN: 1
; COMPUTE_PGM_RSRC2:TGID_Y_EN: 1
; COMPUTE_PGM_RSRC2:TGID_Z_EN: 0
; COMPUTE_PGM_RSRC2:TIDIG_COMP_CNT: 0
	.section	.text._ZN9rocsolver6v33100L22larf_left_kernel_smallILi128EdlPKPdEEvT1_S5_T2_lS5_lPKT0_lS6_lS5_l,"axG",@progbits,_ZN9rocsolver6v33100L22larf_left_kernel_smallILi128EdlPKPdEEvT1_S5_T2_lS5_lPKT0_lS6_lS5_l,comdat
	.globl	_ZN9rocsolver6v33100L22larf_left_kernel_smallILi128EdlPKPdEEvT1_S5_T2_lS5_lPKT0_lS6_lS5_l ; -- Begin function _ZN9rocsolver6v33100L22larf_left_kernel_smallILi128EdlPKPdEEvT1_S5_T2_lS5_lPKT0_lS6_lS5_l
	.p2align	8
	.type	_ZN9rocsolver6v33100L22larf_left_kernel_smallILi128EdlPKPdEEvT1_S5_T2_lS5_lPKT0_lS6_lS5_l,@function
_ZN9rocsolver6v33100L22larf_left_kernel_smallILi128EdlPKPdEEvT1_S5_T2_lS5_lPKT0_lS6_lS5_l: ; @_ZN9rocsolver6v33100L22larf_left_kernel_smallILi128EdlPKPdEEvT1_S5_T2_lS5_lPKT0_lS6_lS5_l
; %bb.0:
	s_clause 0x3
	s_load_b64 s[22:23], s[0:1], 0x20
	s_load_b256 s[4:11], s[0:1], 0x0
	s_load_b256 s[12:19], s[0:1], 0x30
	s_load_b64 s[20:21], s[0:1], 0x50
	s_wait_xcnt 0x0
	s_bfe_u32 s0, ttmp6, 0x4000c
	s_and_b32 s2, ttmp6, 15
	s_add_co_i32 s0, s0, 1
	s_getreg_b32 s1, hwreg(HW_REG_IB_STS2, 6, 4)
	s_mul_i32 s0, ttmp9, s0
	s_mov_b32 s3, 0
	s_add_co_i32 s2, s2, s0
	s_cmp_eq_u32 s1, 0
	s_cselect_b32 s2, ttmp9, s2
	s_wait_kmcnt 0x0
	v_cmp_gt_i64_e64 s24, s[22:23], 0
	s_and_b32 vcc_lo, exec_lo, s24
	s_mov_b64 s[24:25], 0
	s_cbranch_vccnz .LBB31_2
; %bb.1:
	s_sub_nc_u64 s[24:25], 1, s[4:5]
	s_delay_alu instid0(SALU_CYCLE_1)
	s_mul_u64 s[24:25], s[22:23], s[24:25]
.LBB31_2:
	s_load_b64 s[16:17], s[16:17], s2 offset:0x0 scale_offset
	v_dual_mov_b32 v1, 0 :: v_dual_lshlrev_b32 v12, 3, v0
	s_delay_alu instid0(VALU_DEP_1)
	v_cmp_gt_i64_e64 s0, s[4:5], v[0:1]
	s_and_saveexec_b32 s26, s0
	s_cbranch_execz .LBB31_5
; %bb.3:
	v_mul_u64_e32 v[2:3], s[22:23], v[0:1]
	s_load_b64 s[8:9], s[8:9], s2 offset:0x0 scale_offset
	s_lshl_b64 s[10:11], s[10:11], 3
	s_lshl_b64 s[24:25], s[24:25], 3
	v_mov_b64_e32 v[4:5], v[0:1]
	v_lshlrev_b32_e32 v6, 3, v0
	s_wait_kmcnt 0x0
	s_add_nc_u64 s[8:9], s[8:9], s[10:11]
	s_mov_b32 s10, 0
	s_add_nc_u64 s[8:9], s[8:9], s[24:25]
	s_delay_alu instid0(VALU_DEP_3) | instid1(SALU_CYCLE_1)
	v_lshl_add_u64 v[2:3], v[2:3], 3, s[8:9]
	s_lshl_b64 s[8:9], s[22:23], 10
.LBB31_4:                               ; =>This Inner Loop Header: Depth=1
	flat_load_b64 v[8:9], v[2:3]
	v_add_nc_u64_e32 v[4:5], 0x80, v[4:5]
	s_wait_xcnt 0x0
	v_add_nc_u64_e32 v[2:3], s[8:9], v[2:3]
	s_delay_alu instid0(VALU_DEP_2)
	v_cmp_le_i64_e32 vcc_lo, s[4:5], v[4:5]
	s_or_b32 s10, vcc_lo, s10
	s_wait_loadcnt_dscnt 0x0
	ds_store_b64 v6, v[8:9]
	v_add_nc_u32_e32 v6, 0x400, v6
	s_and_not1_b32 exec_lo, exec_lo, s10
	s_cbranch_execnz .LBB31_4
.LBB31_5:
	s_or_b32 exec_lo, exec_lo, s26
	s_bfe_u32 s8, ttmp6, 0x40010
	s_bfe_u32 s9, ttmp6, 0x40004
	s_add_co_i32 s8, s8, 1
	s_wait_dscnt 0x0
	s_mul_i32 s8, ttmp7, s8
	s_barrier_signal -1
	s_add_co_i32 s8, s9, s8
	s_cmp_eq_u32 s1, 0
	s_mov_b32 s9, 0
	s_cselect_b32 s8, ttmp7, s8
	s_barrier_wait -1
	v_cmp_le_i64_e64 s1, s[6:7], s[8:9]
	s_and_b32 vcc_lo, exec_lo, s1
	s_cbranch_vccnz .LBB31_25
; %bb.6:
	s_wait_xcnt 0x0
	s_mul_u64 s[2:3], s[14:15], s[2:3]
	v_dual_mov_b32 v3, 0 :: v_dual_bitop2_b32 v2, 31, v0 bitop3:0x40
	s_lshl_b64 s[10:11], s[2:3], 3
	s_cmp_gt_i32 s4, 1
	s_mul_u64 s[2:3], s[20:21], s[8:9]
	s_cselect_b32 s14, -1, 0
	s_lshl_b64 s[22:23], s[2:3], 3
	s_lshl_b64 s[18:19], s[18:19], 3
	v_cmp_eq_u32_e64 s2, 0, v2
	v_dual_lshlrev_b32 v2, 3, v0 :: v_dual_lshrrev_b32 v14, 2, v0
	s_add_nc_u64 s[18:19], s[22:23], s[18:19]
	v_mbcnt_lo_u32_b32 v13, -1, 0
	s_wait_kmcnt 0x0
	s_add_nc_u64 s[16:17], s[16:17], s[18:19]
	v_cmp_gt_i32_e64 s1, s4, v0
	v_add_nc_u64_e32 v[4:5], s[16:17], v[2:3]
	v_cmp_eq_u32_e64 s3, 0, v0
	v_lshl_or_b32 v2, v13, 2, 64
	v_mov_b32_e32 v15, 0x4008
	s_add_nc_u64 s[10:11], s[12:13], s[10:11]
	s_lshl_b64 s[12:13], s[20:21], 9
	s_branch .LBB31_8
.LBB31_7:                               ;   in Loop: Header=BB31_8 Depth=1
	s_or_b32 exec_lo, exec_lo, s15
	s_add_nc_u64 s[8:9], s[8:9], 64
	v_add_nc_u64_e32 v[4:5], s[12:13], v[4:5]
	v_cmp_ge_i64_e64 s15, s[8:9], s[6:7]
	s_and_b32 vcc_lo, exec_lo, s15
	s_cbranch_vccnz .LBB31_25
.LBB31_8:                               ; =>This Loop Header: Depth=1
                                        ;     Child Loop BB31_10 Depth 2
                                        ;     Child Loop BB31_24 Depth 2
	v_mov_b64_e32 v[6:7], 0
	s_and_saveexec_b32 s15, s1
	s_cbranch_execz .LBB31_12
; %bb.9:                                ;   in Loop: Header=BB31_8 Depth=1
	v_mov_b64_e32 v[6:7], 0
	v_mov_b64_e32 v[8:9], v[4:5]
	v_dual_mov_b32 v10, v12 :: v_dual_mov_b32 v11, v0
	s_mov_b32 s16, 0
.LBB31_10:                              ;   Parent Loop BB31_8 Depth=1
                                        ; =>  This Inner Loop Header: Depth=2
	flat_load_b64 v[16:17], v[8:9]
	ds_load_b64 v[18:19], v10
	v_add_nc_u32_e32 v11, 0x80, v11
	s_wait_xcnt 0x0
	v_add_nc_u64_e32 v[8:9], 0x400, v[8:9]
	v_add_nc_u32_e32 v10, 0x400, v10
	s_delay_alu instid0(VALU_DEP_3)
	v_cmp_le_i32_e32 vcc_lo, s4, v11
	s_or_b32 s16, vcc_lo, s16
	s_wait_loadcnt_dscnt 0x0
	v_fmac_f64_e32 v[6:7], v[18:19], v[16:17]
	s_and_not1_b32 exec_lo, exec_lo, s16
	s_cbranch_execnz .LBB31_10
; %bb.11:                               ;   in Loop: Header=BB31_8 Depth=1
	s_or_b32 exec_lo, exec_lo, s16
.LBB31_12:                              ;   in Loop: Header=BB31_8 Depth=1
	s_delay_alu instid0(SALU_CYCLE_1) | instskip(NEXT) | instid1(SALU_CYCLE_1)
	s_or_b32 exec_lo, exec_lo, s15
	s_and_b32 vcc_lo, exec_lo, s14
	s_cbranch_vccz .LBB31_19
; %bb.13:                               ;   in Loop: Header=BB31_8 Depth=1
	v_cmp_ne_u32_e32 vcc_lo, 31, v13
	v_add_co_ci_u32_e64 v8, null, 0, v13, vcc_lo
	v_cmp_gt_u32_e32 vcc_lo, 30, v13
	s_delay_alu instid0(VALU_DEP_2)
	v_lshlrev_b32_e32 v9, 2, v8
	v_cndmask_b32_e64 v10, 0, 2, vcc_lo
	v_cmp_gt_u32_e32 vcc_lo, 28, v13
	ds_bpermute_b32 v8, v9, v6
	ds_bpermute_b32 v9, v9, v7
	v_add_lshl_u32 v11, v10, v13, 2
	s_wait_dscnt 0x0
	v_add_f64_e32 v[8:9], v[6:7], v[8:9]
	ds_bpermute_b32 v10, v11, v8
	ds_bpermute_b32 v11, v11, v9
	s_wait_dscnt 0x0
	v_add_f64_e32 v[8:9], v[8:9], v[10:11]
	v_cndmask_b32_e64 v10, 0, 4, vcc_lo
	v_cmp_gt_u32_e32 vcc_lo, 24, v13
	s_delay_alu instid0(VALU_DEP_2)
	v_add_lshl_u32 v11, v10, v13, 2
	ds_bpermute_b32 v10, v11, v8
	ds_bpermute_b32 v11, v11, v9
	s_wait_dscnt 0x0
	v_add_f64_e32 v[8:9], v[8:9], v[10:11]
	v_cndmask_b32_e64 v10, 0, 8, vcc_lo
	s_delay_alu instid0(VALU_DEP_1)
	v_add_lshl_u32 v11, v10, v13, 2
	ds_bpermute_b32 v10, v11, v8
	ds_bpermute_b32 v11, v11, v9
	s_wait_dscnt 0x0
	v_add_f64_e32 v[8:9], v[8:9], v[10:11]
	ds_bpermute_b32 v10, v2, v8
	ds_bpermute_b32 v11, v2, v9
	s_wait_dscnt 0x0
	v_add_f64_e32 v[8:9], v[8:9], v[10:11]
	s_and_saveexec_b32 s15, s2
; %bb.14:                               ;   in Loop: Header=BB31_8 Depth=1
	ds_store_b64 v14, v[8:9] offset:16384
; %bb.15:                               ;   in Loop: Header=BB31_8 Depth=1
	s_or_b32 exec_lo, exec_lo, s15
	s_mov_b32 s16, 0
	s_mov_b32 s15, 0
	s_wait_dscnt 0x0
	s_barrier_signal -1
	s_barrier_wait -1
                                        ; implicit-def: $vgpr10_vgpr11
	s_and_saveexec_b32 s17, s3
	s_delay_alu instid0(SALU_CYCLE_1)
	s_xor_b32 s17, exec_lo, s17
	s_cbranch_execz .LBB31_17
; %bb.16:                               ;   in Loop: Header=BB31_8 Depth=1
	ds_load_2addr_b64 v[16:19], v15 offset1:1
	ds_load_b64 v[10:11], v3 offset:16408
	s_mov_b32 s15, exec_lo
	s_wait_dscnt 0x1
	v_add_f64_e32 v[8:9], v[8:9], v[16:17]
	s_delay_alu instid0(VALU_DEP_1) | instskip(SKIP_1) | instid1(VALU_DEP_1)
	v_add_f64_e32 v[8:9], v[8:9], v[18:19]
	s_wait_dscnt 0x0
	v_add_f64_e32 v[10:11], v[8:9], v[10:11]
.LBB31_17:                              ;   in Loop: Header=BB31_8 Depth=1
	s_or_b32 exec_lo, exec_lo, s17
	s_delay_alu instid0(SALU_CYCLE_1)
	s_and_b32 vcc_lo, exec_lo, s16
	s_cbranch_vccnz .LBB31_20
.LBB31_18:                              ;   in Loop: Header=BB31_8 Depth=1
	s_delay_alu instid0(VALU_DEP_1)
	v_mov_b64_e32 v[6:7], v[10:11]
	s_and_saveexec_b32 s16, s15
	s_cbranch_execnz .LBB31_21
	s_branch .LBB31_22
.LBB31_19:                              ;   in Loop: Header=BB31_8 Depth=1
	s_mov_b32 s15, 0
                                        ; implicit-def: $vgpr10_vgpr11
	s_cbranch_execz .LBB31_18
.LBB31_20:                              ;   in Loop: Header=BB31_8 Depth=1
	s_and_not1_b32 s15, s15, exec_lo
	s_and_b32 s16, s3, exec_lo
	s_delay_alu instid0(SALU_CYCLE_1) | instskip(NEXT) | instid1(SALU_CYCLE_1)
	s_or_b32 s15, s15, s16
	s_and_saveexec_b32 s16, s15
.LBB31_21:                              ;   in Loop: Header=BB31_8 Depth=1
	ds_store_b64 v3, v[6:7] offset:16384
.LBB31_22:                              ;   in Loop: Header=BB31_8 Depth=1
	s_or_b32 exec_lo, exec_lo, s16
	s_wait_dscnt 0x0
	s_barrier_signal -1
	s_barrier_wait -1
	s_and_saveexec_b32 s15, s0
	s_cbranch_execz .LBB31_7
; %bb.23:                               ;   in Loop: Header=BB31_8 Depth=1
	global_load_b64 v[6:7], v3, s[10:11]
	ds_load_b64 v[8:9], v3 offset:16384
	v_mov_b64_e32 v[10:11], v[0:1]
	v_mov_b32_e32 v16, v12
	s_mov_b32 s16, 0
	s_wait_loadcnt_dscnt 0x0
	v_mul_f64_e64 v[6:7], v[8:9], -v[6:7]
	v_mov_b64_e32 v[8:9], v[4:5]
.LBB31_24:                              ;   Parent Loop BB31_8 Depth=1
                                        ; =>  This Inner Loop Header: Depth=2
	flat_load_b64 v[18:19], v[8:9]
	ds_load_b64 v[20:21], v16
	v_add_nc_u64_e32 v[10:11], 0x80, v[10:11]
	v_add_nc_u32_e32 v16, 0x400, v16
	s_delay_alu instid0(VALU_DEP_2)
	v_cmp_le_i64_e32 vcc_lo, s[4:5], v[10:11]
	s_or_b32 s16, vcc_lo, s16
	s_wait_loadcnt_dscnt 0x0
	v_fmac_f64_e32 v[18:19], v[6:7], v[20:21]
	flat_store_b64 v[8:9], v[18:19]
	s_wait_xcnt 0x0
	v_add_nc_u64_e32 v[8:9], 0x400, v[8:9]
	s_and_not1_b32 exec_lo, exec_lo, s16
	s_cbranch_execnz .LBB31_24
	s_branch .LBB31_7
.LBB31_25:
	s_endpgm
	.section	.rodata,"a",@progbits
	.p2align	6, 0x0
	.amdhsa_kernel _ZN9rocsolver6v33100L22larf_left_kernel_smallILi128EdlPKPdEEvT1_S5_T2_lS5_lPKT0_lS6_lS5_l
		.amdhsa_group_segment_fixed_size 17408
		.amdhsa_private_segment_fixed_size 0
		.amdhsa_kernarg_size 96
		.amdhsa_user_sgpr_count 2
		.amdhsa_user_sgpr_dispatch_ptr 0
		.amdhsa_user_sgpr_queue_ptr 0
		.amdhsa_user_sgpr_kernarg_segment_ptr 1
		.amdhsa_user_sgpr_dispatch_id 0
		.amdhsa_user_sgpr_kernarg_preload_length 0
		.amdhsa_user_sgpr_kernarg_preload_offset 0
		.amdhsa_user_sgpr_private_segment_size 0
		.amdhsa_wavefront_size32 1
		.amdhsa_uses_dynamic_stack 0
		.amdhsa_enable_private_segment 0
		.amdhsa_system_sgpr_workgroup_id_x 1
		.amdhsa_system_sgpr_workgroup_id_y 1
		.amdhsa_system_sgpr_workgroup_id_z 0
		.amdhsa_system_sgpr_workgroup_info 0
		.amdhsa_system_vgpr_workitem_id 0
		.amdhsa_next_free_vgpr 22
		.amdhsa_next_free_sgpr 27
		.amdhsa_named_barrier_count 0
		.amdhsa_reserve_vcc 1
		.amdhsa_float_round_mode_32 0
		.amdhsa_float_round_mode_16_64 0
		.amdhsa_float_denorm_mode_32 3
		.amdhsa_float_denorm_mode_16_64 3
		.amdhsa_fp16_overflow 0
		.amdhsa_memory_ordered 1
		.amdhsa_forward_progress 1
		.amdhsa_inst_pref_size 10
		.amdhsa_round_robin_scheduling 0
		.amdhsa_exception_fp_ieee_invalid_op 0
		.amdhsa_exception_fp_denorm_src 0
		.amdhsa_exception_fp_ieee_div_zero 0
		.amdhsa_exception_fp_ieee_overflow 0
		.amdhsa_exception_fp_ieee_underflow 0
		.amdhsa_exception_fp_ieee_inexact 0
		.amdhsa_exception_int_div_zero 0
	.end_amdhsa_kernel
	.section	.text._ZN9rocsolver6v33100L22larf_left_kernel_smallILi128EdlPKPdEEvT1_S5_T2_lS5_lPKT0_lS6_lS5_l,"axG",@progbits,_ZN9rocsolver6v33100L22larf_left_kernel_smallILi128EdlPKPdEEvT1_S5_T2_lS5_lPKT0_lS6_lS5_l,comdat
.Lfunc_end31:
	.size	_ZN9rocsolver6v33100L22larf_left_kernel_smallILi128EdlPKPdEEvT1_S5_T2_lS5_lPKT0_lS6_lS5_l, .Lfunc_end31-_ZN9rocsolver6v33100L22larf_left_kernel_smallILi128EdlPKPdEEvT1_S5_T2_lS5_lPKT0_lS6_lS5_l
                                        ; -- End function
	.set _ZN9rocsolver6v33100L22larf_left_kernel_smallILi128EdlPKPdEEvT1_S5_T2_lS5_lPKT0_lS6_lS5_l.num_vgpr, 22
	.set _ZN9rocsolver6v33100L22larf_left_kernel_smallILi128EdlPKPdEEvT1_S5_T2_lS5_lPKT0_lS6_lS5_l.num_agpr, 0
	.set _ZN9rocsolver6v33100L22larf_left_kernel_smallILi128EdlPKPdEEvT1_S5_T2_lS5_lPKT0_lS6_lS5_l.numbered_sgpr, 27
	.set _ZN9rocsolver6v33100L22larf_left_kernel_smallILi128EdlPKPdEEvT1_S5_T2_lS5_lPKT0_lS6_lS5_l.num_named_barrier, 0
	.set _ZN9rocsolver6v33100L22larf_left_kernel_smallILi128EdlPKPdEEvT1_S5_T2_lS5_lPKT0_lS6_lS5_l.private_seg_size, 0
	.set _ZN9rocsolver6v33100L22larf_left_kernel_smallILi128EdlPKPdEEvT1_S5_T2_lS5_lPKT0_lS6_lS5_l.uses_vcc, 1
	.set _ZN9rocsolver6v33100L22larf_left_kernel_smallILi128EdlPKPdEEvT1_S5_T2_lS5_lPKT0_lS6_lS5_l.uses_flat_scratch, 0
	.set _ZN9rocsolver6v33100L22larf_left_kernel_smallILi128EdlPKPdEEvT1_S5_T2_lS5_lPKT0_lS6_lS5_l.has_dyn_sized_stack, 0
	.set _ZN9rocsolver6v33100L22larf_left_kernel_smallILi128EdlPKPdEEvT1_S5_T2_lS5_lPKT0_lS6_lS5_l.has_recursion, 0
	.set _ZN9rocsolver6v33100L22larf_left_kernel_smallILi128EdlPKPdEEvT1_S5_T2_lS5_lPKT0_lS6_lS5_l.has_indirect_call, 0
	.section	.AMDGPU.csdata,"",@progbits
; Kernel info:
; codeLenInByte = 1184
; TotalNumSgprs: 29
; NumVgprs: 22
; ScratchSize: 0
; MemoryBound: 0
; FloatMode: 240
; IeeeMode: 1
; LDSByteSize: 17408 bytes/workgroup (compile time only)
; SGPRBlocks: 0
; VGPRBlocks: 1
; NumSGPRsForWavesPerEU: 29
; NumVGPRsForWavesPerEU: 22
; NamedBarCnt: 0
; Occupancy: 16
; WaveLimiterHint : 0
; COMPUTE_PGM_RSRC2:SCRATCH_EN: 0
; COMPUTE_PGM_RSRC2:USER_SGPR: 2
; COMPUTE_PGM_RSRC2:TRAP_HANDLER: 0
; COMPUTE_PGM_RSRC2:TGID_X_EN: 1
; COMPUTE_PGM_RSRC2:TGID_Y_EN: 1
; COMPUTE_PGM_RSRC2:TGID_Z_EN: 0
; COMPUTE_PGM_RSRC2:TIDIG_COMP_CNT: 0
	.section	.text._ZN9rocsolver6v33100L22larf_left_kernel_smallILi256EdlPKPdEEvT1_S5_T2_lS5_lPKT0_lS6_lS5_l,"axG",@progbits,_ZN9rocsolver6v33100L22larf_left_kernel_smallILi256EdlPKPdEEvT1_S5_T2_lS5_lPKT0_lS6_lS5_l,comdat
	.globl	_ZN9rocsolver6v33100L22larf_left_kernel_smallILi256EdlPKPdEEvT1_S5_T2_lS5_lPKT0_lS6_lS5_l ; -- Begin function _ZN9rocsolver6v33100L22larf_left_kernel_smallILi256EdlPKPdEEvT1_S5_T2_lS5_lPKT0_lS6_lS5_l
	.p2align	8
	.type	_ZN9rocsolver6v33100L22larf_left_kernel_smallILi256EdlPKPdEEvT1_S5_T2_lS5_lPKT0_lS6_lS5_l,@function
_ZN9rocsolver6v33100L22larf_left_kernel_smallILi256EdlPKPdEEvT1_S5_T2_lS5_lPKT0_lS6_lS5_l: ; @_ZN9rocsolver6v33100L22larf_left_kernel_smallILi256EdlPKPdEEvT1_S5_T2_lS5_lPKT0_lS6_lS5_l
; %bb.0:
	s_clause 0x3
	s_load_b64 s[22:23], s[0:1], 0x20
	s_load_b256 s[4:11], s[0:1], 0x0
	s_load_b256 s[12:19], s[0:1], 0x30
	s_load_b64 s[20:21], s[0:1], 0x50
	s_wait_xcnt 0x0
	s_bfe_u32 s0, ttmp6, 0x4000c
	s_and_b32 s2, ttmp6, 15
	s_add_co_i32 s0, s0, 1
	s_getreg_b32 s1, hwreg(HW_REG_IB_STS2, 6, 4)
	s_mul_i32 s0, ttmp9, s0
	s_mov_b32 s3, 0
	s_add_co_i32 s2, s2, s0
	s_cmp_eq_u32 s1, 0
	s_cselect_b32 s2, ttmp9, s2
	s_wait_kmcnt 0x0
	v_cmp_gt_i64_e64 s24, s[22:23], 0
	s_and_b32 vcc_lo, exec_lo, s24
	s_mov_b64 s[24:25], 0
	s_cbranch_vccnz .LBB32_2
; %bb.1:
	s_sub_nc_u64 s[24:25], 1, s[4:5]
	s_delay_alu instid0(SALU_CYCLE_1)
	s_mul_u64 s[24:25], s[22:23], s[24:25]
.LBB32_2:
	s_load_b64 s[16:17], s[16:17], s2 offset:0x0 scale_offset
	v_dual_mov_b32 v1, 0 :: v_dual_lshlrev_b32 v12, 3, v0
	s_delay_alu instid0(VALU_DEP_1)
	v_cmp_gt_i64_e64 s0, s[4:5], v[0:1]
	s_and_saveexec_b32 s26, s0
	s_cbranch_execz .LBB32_5
; %bb.3:
	v_mul_u64_e32 v[2:3], s[22:23], v[0:1]
	s_load_b64 s[8:9], s[8:9], s2 offset:0x0 scale_offset
	s_lshl_b64 s[10:11], s[10:11], 3
	s_lshl_b64 s[24:25], s[24:25], 3
	v_mov_b64_e32 v[4:5], v[0:1]
	v_lshlrev_b32_e32 v6, 3, v0
	s_wait_kmcnt 0x0
	s_add_nc_u64 s[8:9], s[8:9], s[10:11]
	s_mov_b32 s10, 0
	s_add_nc_u64 s[8:9], s[8:9], s[24:25]
	s_delay_alu instid0(VALU_DEP_3) | instid1(SALU_CYCLE_1)
	v_lshl_add_u64 v[2:3], v[2:3], 3, s[8:9]
	s_lshl_b64 s[8:9], s[22:23], 11
.LBB32_4:                               ; =>This Inner Loop Header: Depth=1
	flat_load_b64 v[8:9], v[2:3]
	v_add_nc_u64_e32 v[4:5], 0x100, v[4:5]
	s_wait_xcnt 0x0
	v_add_nc_u64_e32 v[2:3], s[8:9], v[2:3]
	s_delay_alu instid0(VALU_DEP_2)
	v_cmp_le_i64_e32 vcc_lo, s[4:5], v[4:5]
	s_or_b32 s10, vcc_lo, s10
	s_wait_loadcnt_dscnt 0x0
	ds_store_b64 v6, v[8:9]
	v_add_nc_u32_e32 v6, 0x800, v6
	s_and_not1_b32 exec_lo, exec_lo, s10
	s_cbranch_execnz .LBB32_4
.LBB32_5:
	s_or_b32 exec_lo, exec_lo, s26
	s_bfe_u32 s8, ttmp6, 0x40010
	s_bfe_u32 s9, ttmp6, 0x40004
	s_add_co_i32 s8, s8, 1
	s_wait_dscnt 0x0
	s_mul_i32 s8, ttmp7, s8
	s_barrier_signal -1
	s_add_co_i32 s8, s9, s8
	s_cmp_eq_u32 s1, 0
	s_mov_b32 s9, 0
	s_cselect_b32 s8, ttmp7, s8
	s_barrier_wait -1
	v_cmp_le_i64_e64 s1, s[6:7], s[8:9]
	s_and_b32 vcc_lo, exec_lo, s1
	s_cbranch_vccnz .LBB32_25
; %bb.6:
	s_wait_xcnt 0x0
	s_mul_u64 s[2:3], s[14:15], s[2:3]
	v_dual_mov_b32 v3, 0 :: v_dual_bitop2_b32 v2, 31, v0 bitop3:0x40
	s_lshl_b64 s[10:11], s[2:3], 3
	s_cmp_gt_i32 s4, 1
	s_mul_u64 s[2:3], s[20:21], s[8:9]
	s_cselect_b32 s14, -1, 0
	s_lshl_b64 s[22:23], s[2:3], 3
	s_lshl_b64 s[18:19], s[18:19], 3
	v_cmp_eq_u32_e64 s2, 0, v2
	v_dual_lshlrev_b32 v2, 3, v0 :: v_dual_lshrrev_b32 v14, 2, v0
	s_add_nc_u64 s[18:19], s[22:23], s[18:19]
	v_mbcnt_lo_u32_b32 v13, -1, 0
	s_wait_kmcnt 0x0
	s_add_nc_u64 s[16:17], s[16:17], s[18:19]
	v_cmp_gt_i32_e64 s1, s4, v0
	v_add_nc_u64_e32 v[4:5], s[16:17], v[2:3]
	v_cmp_eq_u32_e64 s3, 0, v0
	v_lshl_or_b32 v2, v13, 2, 64
	v_mov_b32_e32 v15, 0x4008
	v_mov_b32_e32 v16, 0x4018
	;; [unrolled: 1-line block ×3, first 2 shown]
	s_add_nc_u64 s[10:11], s[12:13], s[10:11]
	s_lshl_b64 s[12:13], s[20:21], 9
	s_branch .LBB32_8
.LBB32_7:                               ;   in Loop: Header=BB32_8 Depth=1
	s_or_b32 exec_lo, exec_lo, s15
	s_add_nc_u64 s[8:9], s[8:9], 64
	v_add_nc_u64_e32 v[4:5], s[12:13], v[4:5]
	v_cmp_ge_i64_e64 s15, s[8:9], s[6:7]
	s_and_b32 vcc_lo, exec_lo, s15
	s_cbranch_vccnz .LBB32_25
.LBB32_8:                               ; =>This Loop Header: Depth=1
                                        ;     Child Loop BB32_10 Depth 2
                                        ;     Child Loop BB32_24 Depth 2
	v_mov_b64_e32 v[6:7], 0
	s_and_saveexec_b32 s15, s1
	s_cbranch_execz .LBB32_12
; %bb.9:                                ;   in Loop: Header=BB32_8 Depth=1
	v_mov_b64_e32 v[6:7], 0
	v_mov_b64_e32 v[8:9], v[4:5]
	v_dual_mov_b32 v10, v12 :: v_dual_mov_b32 v11, v0
	s_mov_b32 s16, 0
.LBB32_10:                              ;   Parent Loop BB32_8 Depth=1
                                        ; =>  This Inner Loop Header: Depth=2
	flat_load_b64 v[18:19], v[8:9]
	ds_load_b64 v[20:21], v10
	v_add_nc_u32_e32 v11, 0x100, v11
	s_wait_xcnt 0x0
	v_add_nc_u64_e32 v[8:9], 0x800, v[8:9]
	v_add_nc_u32_e32 v10, 0x800, v10
	s_delay_alu instid0(VALU_DEP_3)
	v_cmp_le_i32_e32 vcc_lo, s4, v11
	s_or_b32 s16, vcc_lo, s16
	s_wait_loadcnt_dscnt 0x0
	v_fmac_f64_e32 v[6:7], v[20:21], v[18:19]
	s_and_not1_b32 exec_lo, exec_lo, s16
	s_cbranch_execnz .LBB32_10
; %bb.11:                               ;   in Loop: Header=BB32_8 Depth=1
	s_or_b32 exec_lo, exec_lo, s16
.LBB32_12:                              ;   in Loop: Header=BB32_8 Depth=1
	s_delay_alu instid0(SALU_CYCLE_1) | instskip(NEXT) | instid1(SALU_CYCLE_1)
	s_or_b32 exec_lo, exec_lo, s15
	s_and_b32 vcc_lo, exec_lo, s14
	s_cbranch_vccz .LBB32_19
; %bb.13:                               ;   in Loop: Header=BB32_8 Depth=1
	v_cmp_ne_u32_e32 vcc_lo, 31, v13
	v_add_co_ci_u32_e64 v8, null, 0, v13, vcc_lo
	v_cmp_gt_u32_e32 vcc_lo, 30, v13
	s_delay_alu instid0(VALU_DEP_2)
	v_lshlrev_b32_e32 v9, 2, v8
	v_cndmask_b32_e64 v10, 0, 2, vcc_lo
	v_cmp_gt_u32_e32 vcc_lo, 28, v13
	ds_bpermute_b32 v8, v9, v6
	ds_bpermute_b32 v9, v9, v7
	v_add_lshl_u32 v11, v10, v13, 2
	s_wait_dscnt 0x0
	v_add_f64_e32 v[8:9], v[6:7], v[8:9]
	ds_bpermute_b32 v10, v11, v8
	ds_bpermute_b32 v11, v11, v9
	s_wait_dscnt 0x0
	v_add_f64_e32 v[8:9], v[8:9], v[10:11]
	v_cndmask_b32_e64 v10, 0, 4, vcc_lo
	v_cmp_gt_u32_e32 vcc_lo, 24, v13
	s_delay_alu instid0(VALU_DEP_2)
	v_add_lshl_u32 v11, v10, v13, 2
	ds_bpermute_b32 v10, v11, v8
	ds_bpermute_b32 v11, v11, v9
	s_wait_dscnt 0x0
	v_add_f64_e32 v[8:9], v[8:9], v[10:11]
	v_cndmask_b32_e64 v10, 0, 8, vcc_lo
	s_delay_alu instid0(VALU_DEP_1)
	v_add_lshl_u32 v11, v10, v13, 2
	ds_bpermute_b32 v10, v11, v8
	ds_bpermute_b32 v11, v11, v9
	s_wait_dscnt 0x0
	v_add_f64_e32 v[8:9], v[8:9], v[10:11]
	ds_bpermute_b32 v10, v2, v8
	ds_bpermute_b32 v11, v2, v9
	s_wait_dscnt 0x0
	v_add_f64_e32 v[8:9], v[8:9], v[10:11]
	s_and_saveexec_b32 s15, s2
; %bb.14:                               ;   in Loop: Header=BB32_8 Depth=1
	ds_store_b64 v14, v[8:9] offset:16384
; %bb.15:                               ;   in Loop: Header=BB32_8 Depth=1
	s_or_b32 exec_lo, exec_lo, s15
	s_mov_b32 s16, 0
	s_mov_b32 s15, 0
	s_wait_dscnt 0x0
	s_barrier_signal -1
	s_barrier_wait -1
                                        ; implicit-def: $vgpr10_vgpr11
	s_and_saveexec_b32 s17, s3
	s_delay_alu instid0(SALU_CYCLE_1)
	s_xor_b32 s17, exec_lo, s17
	s_cbranch_execz .LBB32_17
; %bb.16:                               ;   in Loop: Header=BB32_8 Depth=1
	ds_load_2addr_b64 v[18:21], v15 offset1:1
	ds_load_2addr_b64 v[22:25], v16 offset1:1
	s_mov_b32 s15, exec_lo
	s_wait_dscnt 0x1
	v_add_f64_e32 v[8:9], v[8:9], v[18:19]
	s_delay_alu instid0(VALU_DEP_1) | instskip(SKIP_1) | instid1(VALU_DEP_1)
	v_add_f64_e32 v[8:9], v[8:9], v[20:21]
	s_wait_dscnt 0x0
	v_add_f64_e32 v[8:9], v[8:9], v[22:23]
	s_delay_alu instid0(VALU_DEP_1) | instskip(SKIP_4) | instid1(VALU_DEP_1)
	v_add_f64_e32 v[18:19], v[8:9], v[24:25]
	ds_load_2addr_b64 v[8:11], v17 offset1:1
	ds_load_b64 v[20:21], v3 offset:16440
	s_wait_dscnt 0x1
	v_add_f64_e32 v[8:9], v[18:19], v[8:9]
	v_add_f64_e32 v[8:9], v[8:9], v[10:11]
	s_wait_dscnt 0x0
	s_delay_alu instid0(VALU_DEP_1)
	v_add_f64_e32 v[10:11], v[8:9], v[20:21]
.LBB32_17:                              ;   in Loop: Header=BB32_8 Depth=1
	s_or_b32 exec_lo, exec_lo, s17
	s_delay_alu instid0(SALU_CYCLE_1)
	s_and_b32 vcc_lo, exec_lo, s16
	s_cbranch_vccnz .LBB32_20
.LBB32_18:                              ;   in Loop: Header=BB32_8 Depth=1
	s_delay_alu instid0(VALU_DEP_1)
	v_mov_b64_e32 v[6:7], v[10:11]
	s_and_saveexec_b32 s16, s15
	s_cbranch_execnz .LBB32_21
	s_branch .LBB32_22
.LBB32_19:                              ;   in Loop: Header=BB32_8 Depth=1
	s_mov_b32 s15, 0
                                        ; implicit-def: $vgpr10_vgpr11
	s_cbranch_execz .LBB32_18
.LBB32_20:                              ;   in Loop: Header=BB32_8 Depth=1
	s_and_not1_b32 s15, s15, exec_lo
	s_and_b32 s16, s3, exec_lo
	s_delay_alu instid0(SALU_CYCLE_1) | instskip(NEXT) | instid1(SALU_CYCLE_1)
	s_or_b32 s15, s15, s16
	s_and_saveexec_b32 s16, s15
.LBB32_21:                              ;   in Loop: Header=BB32_8 Depth=1
	ds_store_b64 v3, v[6:7] offset:16384
.LBB32_22:                              ;   in Loop: Header=BB32_8 Depth=1
	s_or_b32 exec_lo, exec_lo, s16
	s_wait_dscnt 0x0
	s_barrier_signal -1
	s_barrier_wait -1
	s_and_saveexec_b32 s15, s0
	s_cbranch_execz .LBB32_7
; %bb.23:                               ;   in Loop: Header=BB32_8 Depth=1
	global_load_b64 v[6:7], v3, s[10:11]
	ds_load_b64 v[8:9], v3 offset:16384
	v_mov_b64_e32 v[10:11], v[0:1]
	v_mov_b32_e32 v18, v12
	s_mov_b32 s16, 0
	s_wait_loadcnt_dscnt 0x0
	v_mul_f64_e64 v[6:7], v[8:9], -v[6:7]
	v_mov_b64_e32 v[8:9], v[4:5]
.LBB32_24:                              ;   Parent Loop BB32_8 Depth=1
                                        ; =>  This Inner Loop Header: Depth=2
	flat_load_b64 v[20:21], v[8:9]
	ds_load_b64 v[22:23], v18
	v_add_nc_u64_e32 v[10:11], 0x100, v[10:11]
	v_add_nc_u32_e32 v18, 0x800, v18
	s_delay_alu instid0(VALU_DEP_2)
	v_cmp_le_i64_e32 vcc_lo, s[4:5], v[10:11]
	s_or_b32 s16, vcc_lo, s16
	s_wait_loadcnt_dscnt 0x0
	v_fmac_f64_e32 v[20:21], v[6:7], v[22:23]
	flat_store_b64 v[8:9], v[20:21]
	s_wait_xcnt 0x0
	v_add_nc_u64_e32 v[8:9], 0x800, v[8:9]
	s_and_not1_b32 exec_lo, exec_lo, s16
	s_cbranch_execnz .LBB32_24
	s_branch .LBB32_7
.LBB32_25:
	s_endpgm
	.section	.rodata,"a",@progbits
	.p2align	6, 0x0
	.amdhsa_kernel _ZN9rocsolver6v33100L22larf_left_kernel_smallILi256EdlPKPdEEvT1_S5_T2_lS5_lPKT0_lS6_lS5_l
		.amdhsa_group_segment_fixed_size 18432
		.amdhsa_private_segment_fixed_size 0
		.amdhsa_kernarg_size 96
		.amdhsa_user_sgpr_count 2
		.amdhsa_user_sgpr_dispatch_ptr 0
		.amdhsa_user_sgpr_queue_ptr 0
		.amdhsa_user_sgpr_kernarg_segment_ptr 1
		.amdhsa_user_sgpr_dispatch_id 0
		.amdhsa_user_sgpr_kernarg_preload_length 0
		.amdhsa_user_sgpr_kernarg_preload_offset 0
		.amdhsa_user_sgpr_private_segment_size 0
		.amdhsa_wavefront_size32 1
		.amdhsa_uses_dynamic_stack 0
		.amdhsa_enable_private_segment 0
		.amdhsa_system_sgpr_workgroup_id_x 1
		.amdhsa_system_sgpr_workgroup_id_y 1
		.amdhsa_system_sgpr_workgroup_id_z 0
		.amdhsa_system_sgpr_workgroup_info 0
		.amdhsa_system_vgpr_workitem_id 0
		.amdhsa_next_free_vgpr 26
		.amdhsa_next_free_sgpr 27
		.amdhsa_named_barrier_count 0
		.amdhsa_reserve_vcc 1
		.amdhsa_float_round_mode_32 0
		.amdhsa_float_round_mode_16_64 0
		.amdhsa_float_denorm_mode_32 3
		.amdhsa_float_denorm_mode_16_64 3
		.amdhsa_fp16_overflow 0
		.amdhsa_memory_ordered 1
		.amdhsa_forward_progress 1
		.amdhsa_inst_pref_size 10
		.amdhsa_round_robin_scheduling 0
		.amdhsa_exception_fp_ieee_invalid_op 0
		.amdhsa_exception_fp_denorm_src 0
		.amdhsa_exception_fp_ieee_div_zero 0
		.amdhsa_exception_fp_ieee_overflow 0
		.amdhsa_exception_fp_ieee_underflow 0
		.amdhsa_exception_fp_ieee_inexact 0
		.amdhsa_exception_int_div_zero 0
	.end_amdhsa_kernel
	.section	.text._ZN9rocsolver6v33100L22larf_left_kernel_smallILi256EdlPKPdEEvT1_S5_T2_lS5_lPKT0_lS6_lS5_l,"axG",@progbits,_ZN9rocsolver6v33100L22larf_left_kernel_smallILi256EdlPKPdEEvT1_S5_T2_lS5_lPKT0_lS6_lS5_l,comdat
.Lfunc_end32:
	.size	_ZN9rocsolver6v33100L22larf_left_kernel_smallILi256EdlPKPdEEvT1_S5_T2_lS5_lPKT0_lS6_lS5_l, .Lfunc_end32-_ZN9rocsolver6v33100L22larf_left_kernel_smallILi256EdlPKPdEEvT1_S5_T2_lS5_lPKT0_lS6_lS5_l
                                        ; -- End function
	.set _ZN9rocsolver6v33100L22larf_left_kernel_smallILi256EdlPKPdEEvT1_S5_T2_lS5_lPKT0_lS6_lS5_l.num_vgpr, 26
	.set _ZN9rocsolver6v33100L22larf_left_kernel_smallILi256EdlPKPdEEvT1_S5_T2_lS5_lPKT0_lS6_lS5_l.num_agpr, 0
	.set _ZN9rocsolver6v33100L22larf_left_kernel_smallILi256EdlPKPdEEvT1_S5_T2_lS5_lPKT0_lS6_lS5_l.numbered_sgpr, 27
	.set _ZN9rocsolver6v33100L22larf_left_kernel_smallILi256EdlPKPdEEvT1_S5_T2_lS5_lPKT0_lS6_lS5_l.num_named_barrier, 0
	.set _ZN9rocsolver6v33100L22larf_left_kernel_smallILi256EdlPKPdEEvT1_S5_T2_lS5_lPKT0_lS6_lS5_l.private_seg_size, 0
	.set _ZN9rocsolver6v33100L22larf_left_kernel_smallILi256EdlPKPdEEvT1_S5_T2_lS5_lPKT0_lS6_lS5_l.uses_vcc, 1
	.set _ZN9rocsolver6v33100L22larf_left_kernel_smallILi256EdlPKPdEEvT1_S5_T2_lS5_lPKT0_lS6_lS5_l.uses_flat_scratch, 0
	.set _ZN9rocsolver6v33100L22larf_left_kernel_smallILi256EdlPKPdEEvT1_S5_T2_lS5_lPKT0_lS6_lS5_l.has_dyn_sized_stack, 0
	.set _ZN9rocsolver6v33100L22larf_left_kernel_smallILi256EdlPKPdEEvT1_S5_T2_lS5_lPKT0_lS6_lS5_l.has_recursion, 0
	.set _ZN9rocsolver6v33100L22larf_left_kernel_smallILi256EdlPKPdEEvT1_S5_T2_lS5_lPKT0_lS6_lS5_l.has_indirect_call, 0
	.section	.AMDGPU.csdata,"",@progbits
; Kernel info:
; codeLenInByte = 1248
; TotalNumSgprs: 29
; NumVgprs: 26
; ScratchSize: 0
; MemoryBound: 0
; FloatMode: 240
; IeeeMode: 1
; LDSByteSize: 18432 bytes/workgroup (compile time only)
; SGPRBlocks: 0
; VGPRBlocks: 1
; NumSGPRsForWavesPerEU: 29
; NumVGPRsForWavesPerEU: 26
; NamedBarCnt: 0
; Occupancy: 16
; WaveLimiterHint : 0
; COMPUTE_PGM_RSRC2:SCRATCH_EN: 0
; COMPUTE_PGM_RSRC2:USER_SGPR: 2
; COMPUTE_PGM_RSRC2:TRAP_HANDLER: 0
; COMPUTE_PGM_RSRC2:TGID_X_EN: 1
; COMPUTE_PGM_RSRC2:TGID_Y_EN: 1
; COMPUTE_PGM_RSRC2:TGID_Z_EN: 0
; COMPUTE_PGM_RSRC2:TIDIG_COMP_CNT: 0
	.section	.text._ZN9rocsolver6v33100L22larf_left_kernel_smallILi512EdlPKPdEEvT1_S5_T2_lS5_lPKT0_lS6_lS5_l,"axG",@progbits,_ZN9rocsolver6v33100L22larf_left_kernel_smallILi512EdlPKPdEEvT1_S5_T2_lS5_lPKT0_lS6_lS5_l,comdat
	.globl	_ZN9rocsolver6v33100L22larf_left_kernel_smallILi512EdlPKPdEEvT1_S5_T2_lS5_lPKT0_lS6_lS5_l ; -- Begin function _ZN9rocsolver6v33100L22larf_left_kernel_smallILi512EdlPKPdEEvT1_S5_T2_lS5_lPKT0_lS6_lS5_l
	.p2align	8
	.type	_ZN9rocsolver6v33100L22larf_left_kernel_smallILi512EdlPKPdEEvT1_S5_T2_lS5_lPKT0_lS6_lS5_l,@function
_ZN9rocsolver6v33100L22larf_left_kernel_smallILi512EdlPKPdEEvT1_S5_T2_lS5_lPKT0_lS6_lS5_l: ; @_ZN9rocsolver6v33100L22larf_left_kernel_smallILi512EdlPKPdEEvT1_S5_T2_lS5_lPKT0_lS6_lS5_l
; %bb.0:
	s_clause 0x3
	s_load_b64 s[22:23], s[0:1], 0x20
	s_load_b256 s[4:11], s[0:1], 0x0
	s_load_b256 s[12:19], s[0:1], 0x30
	s_load_b64 s[20:21], s[0:1], 0x50
	s_wait_xcnt 0x0
	s_bfe_u32 s0, ttmp6, 0x4000c
	s_and_b32 s2, ttmp6, 15
	s_add_co_i32 s0, s0, 1
	s_getreg_b32 s1, hwreg(HW_REG_IB_STS2, 6, 4)
	s_mul_i32 s0, ttmp9, s0
	s_mov_b32 s3, 0
	s_add_co_i32 s2, s2, s0
	s_cmp_eq_u32 s1, 0
	s_cselect_b32 s2, ttmp9, s2
	s_wait_kmcnt 0x0
	v_cmp_gt_i64_e64 s24, s[22:23], 0
	s_and_b32 vcc_lo, exec_lo, s24
	s_mov_b64 s[24:25], 0
	s_cbranch_vccnz .LBB33_2
; %bb.1:
	s_sub_nc_u64 s[24:25], 1, s[4:5]
	s_delay_alu instid0(SALU_CYCLE_1)
	s_mul_u64 s[24:25], s[22:23], s[24:25]
.LBB33_2:
	s_load_b64 s[16:17], s[16:17], s2 offset:0x0 scale_offset
	v_dual_mov_b32 v1, 0 :: v_dual_lshlrev_b32 v12, 3, v0
	s_delay_alu instid0(VALU_DEP_1)
	v_cmp_gt_i64_e64 s0, s[4:5], v[0:1]
	s_and_saveexec_b32 s26, s0
	s_cbranch_execz .LBB33_5
; %bb.3:
	v_mul_u64_e32 v[2:3], s[22:23], v[0:1]
	s_load_b64 s[8:9], s[8:9], s2 offset:0x0 scale_offset
	s_lshl_b64 s[10:11], s[10:11], 3
	s_lshl_b64 s[24:25], s[24:25], 3
	v_mov_b64_e32 v[4:5], v[0:1]
	v_lshlrev_b32_e32 v6, 3, v0
	s_wait_kmcnt 0x0
	s_add_nc_u64 s[8:9], s[8:9], s[10:11]
	s_mov_b32 s10, 0
	s_add_nc_u64 s[8:9], s[8:9], s[24:25]
	s_delay_alu instid0(VALU_DEP_3) | instid1(SALU_CYCLE_1)
	v_lshl_add_u64 v[2:3], v[2:3], 3, s[8:9]
	s_lshl_b64 s[8:9], s[22:23], 12
.LBB33_4:                               ; =>This Inner Loop Header: Depth=1
	flat_load_b64 v[8:9], v[2:3]
	v_add_nc_u64_e32 v[4:5], 0x200, v[4:5]
	s_wait_xcnt 0x0
	v_add_nc_u64_e32 v[2:3], s[8:9], v[2:3]
	s_delay_alu instid0(VALU_DEP_2)
	v_cmp_le_i64_e32 vcc_lo, s[4:5], v[4:5]
	s_or_b32 s10, vcc_lo, s10
	s_wait_loadcnt_dscnt 0x0
	ds_store_b64 v6, v[8:9]
	v_add_nc_u32_e32 v6, 0x1000, v6
	s_and_not1_b32 exec_lo, exec_lo, s10
	s_cbranch_execnz .LBB33_4
.LBB33_5:
	s_or_b32 exec_lo, exec_lo, s26
	s_bfe_u32 s8, ttmp6, 0x40010
	s_bfe_u32 s9, ttmp6, 0x40004
	s_add_co_i32 s8, s8, 1
	s_wait_dscnt 0x0
	s_mul_i32 s8, ttmp7, s8
	s_barrier_signal -1
	s_add_co_i32 s8, s9, s8
	s_cmp_eq_u32 s1, 0
	s_mov_b32 s9, 0
	s_cselect_b32 s8, ttmp7, s8
	s_barrier_wait -1
	v_cmp_le_i64_e64 s1, s[6:7], s[8:9]
	s_and_b32 vcc_lo, exec_lo, s1
	s_cbranch_vccnz .LBB33_25
; %bb.6:
	s_wait_xcnt 0x0
	s_mul_u64 s[2:3], s[14:15], s[2:3]
	v_dual_mov_b32 v3, 0 :: v_dual_bitop2_b32 v2, 31, v0 bitop3:0x40
	s_lshl_b64 s[10:11], s[2:3], 3
	s_cmp_gt_i32 s4, 1
	s_mul_u64 s[2:3], s[20:21], s[8:9]
	s_cselect_b32 s14, -1, 0
	s_lshl_b64 s[22:23], s[2:3], 3
	s_lshl_b64 s[18:19], s[18:19], 3
	v_cmp_eq_u32_e64 s2, 0, v2
	v_dual_lshlrev_b32 v2, 3, v0 :: v_dual_lshrrev_b32 v14, 2, v0
	s_add_nc_u64 s[18:19], s[22:23], s[18:19]
	v_mbcnt_lo_u32_b32 v13, -1, 0
	s_wait_kmcnt 0x0
	s_add_nc_u64 s[16:17], s[16:17], s[18:19]
	v_cmp_gt_i32_e64 s1, s4, v0
	v_add_nc_u64_e32 v[4:5], s[16:17], v[2:3]
	v_cmp_eq_u32_e64 s3, 0, v0
	v_lshl_or_b32 v2, v13, 2, 64
	v_mov_b32_e32 v15, 0x4008
	v_mov_b32_e32 v16, 0x4018
	;; [unrolled: 1-line block ×7, first 2 shown]
	s_add_nc_u64 s[10:11], s[12:13], s[10:11]
	s_lshl_b64 s[12:13], s[20:21], 9
	s_branch .LBB33_8
.LBB33_7:                               ;   in Loop: Header=BB33_8 Depth=1
	s_or_b32 exec_lo, exec_lo, s15
	s_add_nc_u64 s[8:9], s[8:9], 64
	v_add_nc_u64_e32 v[4:5], s[12:13], v[4:5]
	v_cmp_ge_i64_e64 s15, s[8:9], s[6:7]
	s_and_b32 vcc_lo, exec_lo, s15
	s_cbranch_vccnz .LBB33_25
.LBB33_8:                               ; =>This Loop Header: Depth=1
                                        ;     Child Loop BB33_10 Depth 2
                                        ;     Child Loop BB33_24 Depth 2
	v_mov_b64_e32 v[6:7], 0
	s_and_saveexec_b32 s15, s1
	s_cbranch_execz .LBB33_12
; %bb.9:                                ;   in Loop: Header=BB33_8 Depth=1
	v_mov_b64_e32 v[6:7], 0
	v_mov_b64_e32 v[8:9], v[4:5]
	v_dual_mov_b32 v10, v12 :: v_dual_mov_b32 v11, v0
	s_mov_b32 s16, 0
.LBB33_10:                              ;   Parent Loop BB33_8 Depth=1
                                        ; =>  This Inner Loop Header: Depth=2
	flat_load_b64 v[22:23], v[8:9]
	ds_load_b64 v[24:25], v10
	v_add_nc_u32_e32 v11, 0x200, v11
	s_wait_xcnt 0x0
	v_add_nc_u64_e32 v[8:9], 0x1000, v[8:9]
	v_add_nc_u32_e32 v10, 0x1000, v10
	s_delay_alu instid0(VALU_DEP_3)
	v_cmp_le_i32_e32 vcc_lo, s4, v11
	s_or_b32 s16, vcc_lo, s16
	s_wait_loadcnt_dscnt 0x0
	v_fmac_f64_e32 v[6:7], v[24:25], v[22:23]
	s_and_not1_b32 exec_lo, exec_lo, s16
	s_cbranch_execnz .LBB33_10
; %bb.11:                               ;   in Loop: Header=BB33_8 Depth=1
	s_or_b32 exec_lo, exec_lo, s16
.LBB33_12:                              ;   in Loop: Header=BB33_8 Depth=1
	s_delay_alu instid0(SALU_CYCLE_1) | instskip(NEXT) | instid1(SALU_CYCLE_1)
	s_or_b32 exec_lo, exec_lo, s15
	s_and_b32 vcc_lo, exec_lo, s14
	s_cbranch_vccz .LBB33_19
; %bb.13:                               ;   in Loop: Header=BB33_8 Depth=1
	v_cmp_ne_u32_e32 vcc_lo, 31, v13
	v_add_co_ci_u32_e64 v8, null, 0, v13, vcc_lo
	v_cmp_gt_u32_e32 vcc_lo, 30, v13
	s_delay_alu instid0(VALU_DEP_2)
	v_lshlrev_b32_e32 v9, 2, v8
	v_cndmask_b32_e64 v10, 0, 2, vcc_lo
	v_cmp_gt_u32_e32 vcc_lo, 28, v13
	ds_bpermute_b32 v8, v9, v6
	ds_bpermute_b32 v9, v9, v7
	v_add_lshl_u32 v11, v10, v13, 2
	s_wait_dscnt 0x0
	v_add_f64_e32 v[8:9], v[6:7], v[8:9]
	ds_bpermute_b32 v10, v11, v8
	ds_bpermute_b32 v11, v11, v9
	s_wait_dscnt 0x0
	v_add_f64_e32 v[8:9], v[8:9], v[10:11]
	v_cndmask_b32_e64 v10, 0, 4, vcc_lo
	v_cmp_gt_u32_e32 vcc_lo, 24, v13
	s_delay_alu instid0(VALU_DEP_2)
	v_add_lshl_u32 v11, v10, v13, 2
	ds_bpermute_b32 v10, v11, v8
	ds_bpermute_b32 v11, v11, v9
	s_wait_dscnt 0x0
	v_add_f64_e32 v[8:9], v[8:9], v[10:11]
	v_cndmask_b32_e64 v10, 0, 8, vcc_lo
	s_delay_alu instid0(VALU_DEP_1)
	v_add_lshl_u32 v11, v10, v13, 2
	ds_bpermute_b32 v10, v11, v8
	ds_bpermute_b32 v11, v11, v9
	s_wait_dscnt 0x0
	v_add_f64_e32 v[8:9], v[8:9], v[10:11]
	ds_bpermute_b32 v10, v2, v8
	ds_bpermute_b32 v11, v2, v9
	s_wait_dscnt 0x0
	v_add_f64_e32 v[8:9], v[8:9], v[10:11]
	s_and_saveexec_b32 s15, s2
; %bb.14:                               ;   in Loop: Header=BB33_8 Depth=1
	ds_store_b64 v14, v[8:9] offset:16384
; %bb.15:                               ;   in Loop: Header=BB33_8 Depth=1
	s_or_b32 exec_lo, exec_lo, s15
	s_mov_b32 s16, 0
	s_mov_b32 s15, 0
	s_wait_dscnt 0x0
	s_barrier_signal -1
	s_barrier_wait -1
                                        ; implicit-def: $vgpr10_vgpr11
	s_and_saveexec_b32 s17, s3
	s_delay_alu instid0(SALU_CYCLE_1)
	s_xor_b32 s17, exec_lo, s17
	s_cbranch_execz .LBB33_17
; %bb.16:                               ;   in Loop: Header=BB33_8 Depth=1
	ds_load_2addr_b64 v[22:25], v15 offset1:1
	ds_load_2addr_b64 v[26:29], v16 offset1:1
	s_mov_b32 s15, exec_lo
	s_wait_dscnt 0x1
	v_add_f64_e32 v[8:9], v[8:9], v[22:23]
	s_delay_alu instid0(VALU_DEP_1) | instskip(SKIP_1) | instid1(VALU_DEP_1)
	v_add_f64_e32 v[8:9], v[8:9], v[24:25]
	s_wait_dscnt 0x0
	v_add_f64_e32 v[8:9], v[8:9], v[26:27]
	s_delay_alu instid0(VALU_DEP_1) | instskip(SKIP_4) | instid1(VALU_DEP_1)
	v_add_f64_e32 v[26:27], v[8:9], v[28:29]
	ds_load_2addr_b64 v[8:11], v17 offset1:1
	ds_load_2addr_b64 v[22:25], v18 offset1:1
	s_wait_dscnt 0x1
	v_add_f64_e32 v[8:9], v[26:27], v[8:9]
	v_add_f64_e32 v[8:9], v[8:9], v[10:11]
	s_wait_dscnt 0x0
	s_delay_alu instid0(VALU_DEP_1) | instskip(NEXT) | instid1(VALU_DEP_1)
	v_add_f64_e32 v[8:9], v[8:9], v[22:23]
	v_add_f64_e32 v[26:27], v[8:9], v[24:25]
	ds_load_2addr_b64 v[8:11], v19 offset1:1
	ds_load_2addr_b64 v[22:25], v20 offset1:1
	s_wait_dscnt 0x1
	v_add_f64_e32 v[8:9], v[26:27], v[8:9]
	s_delay_alu instid0(VALU_DEP_1) | instskip(SKIP_1) | instid1(VALU_DEP_1)
	v_add_f64_e32 v[8:9], v[8:9], v[10:11]
	s_wait_dscnt 0x0
	v_add_f64_e32 v[8:9], v[8:9], v[22:23]
	s_delay_alu instid0(VALU_DEP_1) | instskip(SKIP_4) | instid1(VALU_DEP_1)
	v_add_f64_e32 v[22:23], v[8:9], v[24:25]
	ds_load_2addr_b64 v[8:11], v21 offset1:1
	ds_load_b64 v[24:25], v3 offset:16504
	s_wait_dscnt 0x1
	v_add_f64_e32 v[8:9], v[22:23], v[8:9]
	v_add_f64_e32 v[8:9], v[8:9], v[10:11]
	s_wait_dscnt 0x0
	s_delay_alu instid0(VALU_DEP_1)
	v_add_f64_e32 v[10:11], v[8:9], v[24:25]
.LBB33_17:                              ;   in Loop: Header=BB33_8 Depth=1
	s_or_b32 exec_lo, exec_lo, s17
	s_delay_alu instid0(SALU_CYCLE_1)
	s_and_b32 vcc_lo, exec_lo, s16
	s_cbranch_vccnz .LBB33_20
.LBB33_18:                              ;   in Loop: Header=BB33_8 Depth=1
	s_delay_alu instid0(VALU_DEP_1)
	v_mov_b64_e32 v[6:7], v[10:11]
	s_and_saveexec_b32 s16, s15
	s_cbranch_execnz .LBB33_21
	s_branch .LBB33_22
.LBB33_19:                              ;   in Loop: Header=BB33_8 Depth=1
	s_mov_b32 s15, 0
                                        ; implicit-def: $vgpr10_vgpr11
	s_cbranch_execz .LBB33_18
.LBB33_20:                              ;   in Loop: Header=BB33_8 Depth=1
	s_and_not1_b32 s15, s15, exec_lo
	s_and_b32 s16, s3, exec_lo
	s_delay_alu instid0(SALU_CYCLE_1) | instskip(NEXT) | instid1(SALU_CYCLE_1)
	s_or_b32 s15, s15, s16
	s_and_saveexec_b32 s16, s15
.LBB33_21:                              ;   in Loop: Header=BB33_8 Depth=1
	ds_store_b64 v3, v[6:7] offset:16384
.LBB33_22:                              ;   in Loop: Header=BB33_8 Depth=1
	s_or_b32 exec_lo, exec_lo, s16
	s_wait_dscnt 0x0
	s_barrier_signal -1
	s_barrier_wait -1
	s_and_saveexec_b32 s15, s0
	s_cbranch_execz .LBB33_7
; %bb.23:                               ;   in Loop: Header=BB33_8 Depth=1
	global_load_b64 v[6:7], v3, s[10:11]
	ds_load_b64 v[8:9], v3 offset:16384
	v_mov_b64_e32 v[10:11], v[0:1]
	v_mov_b32_e32 v22, v12
	s_mov_b32 s16, 0
	s_wait_loadcnt_dscnt 0x0
	v_mul_f64_e64 v[6:7], v[8:9], -v[6:7]
	v_mov_b64_e32 v[8:9], v[4:5]
.LBB33_24:                              ;   Parent Loop BB33_8 Depth=1
                                        ; =>  This Inner Loop Header: Depth=2
	flat_load_b64 v[24:25], v[8:9]
	ds_load_b64 v[26:27], v22
	v_add_nc_u64_e32 v[10:11], 0x200, v[10:11]
	v_add_nc_u32_e32 v22, 0x1000, v22
	s_delay_alu instid0(VALU_DEP_2)
	v_cmp_le_i64_e32 vcc_lo, s[4:5], v[10:11]
	s_or_b32 s16, vcc_lo, s16
	s_wait_loadcnt_dscnt 0x0
	v_fmac_f64_e32 v[24:25], v[6:7], v[26:27]
	flat_store_b64 v[8:9], v[24:25]
	s_wait_xcnt 0x0
	v_add_nc_u64_e32 v[8:9], 0x1000, v[8:9]
	s_and_not1_b32 exec_lo, exec_lo, s16
	s_cbranch_execnz .LBB33_24
	s_branch .LBB33_7
.LBB33_25:
	s_endpgm
	.section	.rodata,"a",@progbits
	.p2align	6, 0x0
	.amdhsa_kernel _ZN9rocsolver6v33100L22larf_left_kernel_smallILi512EdlPKPdEEvT1_S5_T2_lS5_lPKT0_lS6_lS5_l
		.amdhsa_group_segment_fixed_size 20480
		.amdhsa_private_segment_fixed_size 0
		.amdhsa_kernarg_size 96
		.amdhsa_user_sgpr_count 2
		.amdhsa_user_sgpr_dispatch_ptr 0
		.amdhsa_user_sgpr_queue_ptr 0
		.amdhsa_user_sgpr_kernarg_segment_ptr 1
		.amdhsa_user_sgpr_dispatch_id 0
		.amdhsa_user_sgpr_kernarg_preload_length 0
		.amdhsa_user_sgpr_kernarg_preload_offset 0
		.amdhsa_user_sgpr_private_segment_size 0
		.amdhsa_wavefront_size32 1
		.amdhsa_uses_dynamic_stack 0
		.amdhsa_enable_private_segment 0
		.amdhsa_system_sgpr_workgroup_id_x 1
		.amdhsa_system_sgpr_workgroup_id_y 1
		.amdhsa_system_sgpr_workgroup_id_z 0
		.amdhsa_system_sgpr_workgroup_info 0
		.amdhsa_system_vgpr_workitem_id 0
		.amdhsa_next_free_vgpr 30
		.amdhsa_next_free_sgpr 27
		.amdhsa_named_barrier_count 0
		.amdhsa_reserve_vcc 1
		.amdhsa_float_round_mode_32 0
		.amdhsa_float_round_mode_16_64 0
		.amdhsa_float_denorm_mode_32 3
		.amdhsa_float_denorm_mode_16_64 3
		.amdhsa_fp16_overflow 0
		.amdhsa_memory_ordered 1
		.amdhsa_forward_progress 1
		.amdhsa_inst_pref_size 11
		.amdhsa_round_robin_scheduling 0
		.amdhsa_exception_fp_ieee_invalid_op 0
		.amdhsa_exception_fp_denorm_src 0
		.amdhsa_exception_fp_ieee_div_zero 0
		.amdhsa_exception_fp_ieee_overflow 0
		.amdhsa_exception_fp_ieee_underflow 0
		.amdhsa_exception_fp_ieee_inexact 0
		.amdhsa_exception_int_div_zero 0
	.end_amdhsa_kernel
	.section	.text._ZN9rocsolver6v33100L22larf_left_kernel_smallILi512EdlPKPdEEvT1_S5_T2_lS5_lPKT0_lS6_lS5_l,"axG",@progbits,_ZN9rocsolver6v33100L22larf_left_kernel_smallILi512EdlPKPdEEvT1_S5_T2_lS5_lPKT0_lS6_lS5_l,comdat
.Lfunc_end33:
	.size	_ZN9rocsolver6v33100L22larf_left_kernel_smallILi512EdlPKPdEEvT1_S5_T2_lS5_lPKT0_lS6_lS5_l, .Lfunc_end33-_ZN9rocsolver6v33100L22larf_left_kernel_smallILi512EdlPKPdEEvT1_S5_T2_lS5_lPKT0_lS6_lS5_l
                                        ; -- End function
	.set _ZN9rocsolver6v33100L22larf_left_kernel_smallILi512EdlPKPdEEvT1_S5_T2_lS5_lPKT0_lS6_lS5_l.num_vgpr, 30
	.set _ZN9rocsolver6v33100L22larf_left_kernel_smallILi512EdlPKPdEEvT1_S5_T2_lS5_lPKT0_lS6_lS5_l.num_agpr, 0
	.set _ZN9rocsolver6v33100L22larf_left_kernel_smallILi512EdlPKPdEEvT1_S5_T2_lS5_lPKT0_lS6_lS5_l.numbered_sgpr, 27
	.set _ZN9rocsolver6v33100L22larf_left_kernel_smallILi512EdlPKPdEEvT1_S5_T2_lS5_lPKT0_lS6_lS5_l.num_named_barrier, 0
	.set _ZN9rocsolver6v33100L22larf_left_kernel_smallILi512EdlPKPdEEvT1_S5_T2_lS5_lPKT0_lS6_lS5_l.private_seg_size, 0
	.set _ZN9rocsolver6v33100L22larf_left_kernel_smallILi512EdlPKPdEEvT1_S5_T2_lS5_lPKT0_lS6_lS5_l.uses_vcc, 1
	.set _ZN9rocsolver6v33100L22larf_left_kernel_smallILi512EdlPKPdEEvT1_S5_T2_lS5_lPKT0_lS6_lS5_l.uses_flat_scratch, 0
	.set _ZN9rocsolver6v33100L22larf_left_kernel_smallILi512EdlPKPdEEvT1_S5_T2_lS5_lPKT0_lS6_lS5_l.has_dyn_sized_stack, 0
	.set _ZN9rocsolver6v33100L22larf_left_kernel_smallILi512EdlPKPdEEvT1_S5_T2_lS5_lPKT0_lS6_lS5_l.has_recursion, 0
	.set _ZN9rocsolver6v33100L22larf_left_kernel_smallILi512EdlPKPdEEvT1_S5_T2_lS5_lPKT0_lS6_lS5_l.has_indirect_call, 0
	.section	.AMDGPU.csdata,"",@progbits
; Kernel info:
; codeLenInByte = 1372
; TotalNumSgprs: 29
; NumVgprs: 30
; ScratchSize: 0
; MemoryBound: 0
; FloatMode: 240
; IeeeMode: 1
; LDSByteSize: 20480 bytes/workgroup (compile time only)
; SGPRBlocks: 0
; VGPRBlocks: 1
; NumSGPRsForWavesPerEU: 29
; NumVGPRsForWavesPerEU: 30
; NamedBarCnt: 0
; Occupancy: 16
; WaveLimiterHint : 0
; COMPUTE_PGM_RSRC2:SCRATCH_EN: 0
; COMPUTE_PGM_RSRC2:USER_SGPR: 2
; COMPUTE_PGM_RSRC2:TRAP_HANDLER: 0
; COMPUTE_PGM_RSRC2:TGID_X_EN: 1
; COMPUTE_PGM_RSRC2:TGID_Y_EN: 1
; COMPUTE_PGM_RSRC2:TGID_Z_EN: 0
; COMPUTE_PGM_RSRC2:TIDIG_COMP_CNT: 0
	.section	.text._ZN9rocsolver6v33100L22larf_left_kernel_smallILi1024EdlPKPdEEvT1_S5_T2_lS5_lPKT0_lS6_lS5_l,"axG",@progbits,_ZN9rocsolver6v33100L22larf_left_kernel_smallILi1024EdlPKPdEEvT1_S5_T2_lS5_lPKT0_lS6_lS5_l,comdat
	.globl	_ZN9rocsolver6v33100L22larf_left_kernel_smallILi1024EdlPKPdEEvT1_S5_T2_lS5_lPKT0_lS6_lS5_l ; -- Begin function _ZN9rocsolver6v33100L22larf_left_kernel_smallILi1024EdlPKPdEEvT1_S5_T2_lS5_lPKT0_lS6_lS5_l
	.p2align	8
	.type	_ZN9rocsolver6v33100L22larf_left_kernel_smallILi1024EdlPKPdEEvT1_S5_T2_lS5_lPKT0_lS6_lS5_l,@function
_ZN9rocsolver6v33100L22larf_left_kernel_smallILi1024EdlPKPdEEvT1_S5_T2_lS5_lPKT0_lS6_lS5_l: ; @_ZN9rocsolver6v33100L22larf_left_kernel_smallILi1024EdlPKPdEEvT1_S5_T2_lS5_lPKT0_lS6_lS5_l
; %bb.0:
	s_clause 0x3
	s_load_b64 s[22:23], s[0:1], 0x20
	s_load_b256 s[4:11], s[0:1], 0x0
	s_load_b256 s[12:19], s[0:1], 0x30
	s_load_b64 s[20:21], s[0:1], 0x50
	s_wait_xcnt 0x0
	s_bfe_u32 s0, ttmp6, 0x4000c
	s_and_b32 s2, ttmp6, 15
	s_add_co_i32 s0, s0, 1
	s_getreg_b32 s1, hwreg(HW_REG_IB_STS2, 6, 4)
	s_mul_i32 s0, ttmp9, s0
	s_mov_b32 s3, 0
	s_add_co_i32 s2, s2, s0
	s_cmp_eq_u32 s1, 0
	s_cselect_b32 s2, ttmp9, s2
	s_wait_kmcnt 0x0
	v_cmp_gt_i64_e64 s24, s[22:23], 0
	s_and_b32 vcc_lo, exec_lo, s24
	s_mov_b64 s[24:25], 0
	s_cbranch_vccnz .LBB34_2
; %bb.1:
	s_sub_nc_u64 s[24:25], 1, s[4:5]
	s_delay_alu instid0(SALU_CYCLE_1)
	s_mul_u64 s[24:25], s[22:23], s[24:25]
.LBB34_2:
	s_load_b64 s[16:17], s[16:17], s2 offset:0x0 scale_offset
	v_dual_mov_b32 v1, 0 :: v_dual_lshlrev_b32 v12, 3, v0
	s_delay_alu instid0(VALU_DEP_1)
	v_cmp_gt_i64_e64 s0, s[4:5], v[0:1]
	s_and_saveexec_b32 s26, s0
	s_cbranch_execz .LBB34_5
; %bb.3:
	v_mul_u64_e32 v[2:3], s[22:23], v[0:1]
	s_load_b64 s[8:9], s[8:9], s2 offset:0x0 scale_offset
	s_lshl_b64 s[10:11], s[10:11], 3
	s_lshl_b64 s[24:25], s[24:25], 3
	v_mov_b64_e32 v[4:5], v[0:1]
	v_lshlrev_b32_e32 v6, 3, v0
	s_wait_kmcnt 0x0
	s_add_nc_u64 s[8:9], s[8:9], s[10:11]
	s_mov_b32 s10, 0
	s_add_nc_u64 s[8:9], s[8:9], s[24:25]
	s_delay_alu instid0(VALU_DEP_3) | instid1(SALU_CYCLE_1)
	v_lshl_add_u64 v[2:3], v[2:3], 3, s[8:9]
	s_lshl_b64 s[8:9], s[22:23], 13
.LBB34_4:                               ; =>This Inner Loop Header: Depth=1
	flat_load_b64 v[8:9], v[2:3]
	v_add_nc_u64_e32 v[4:5], 0x400, v[4:5]
	s_wait_xcnt 0x0
	v_add_nc_u64_e32 v[2:3], s[8:9], v[2:3]
	s_delay_alu instid0(VALU_DEP_2)
	v_cmp_le_i64_e32 vcc_lo, s[4:5], v[4:5]
	s_or_b32 s10, vcc_lo, s10
	s_wait_loadcnt_dscnt 0x0
	ds_store_b64 v6, v[8:9]
	v_add_nc_u32_e32 v6, 0x2000, v6
	s_and_not1_b32 exec_lo, exec_lo, s10
	s_cbranch_execnz .LBB34_4
.LBB34_5:
	s_or_b32 exec_lo, exec_lo, s26
	s_bfe_u32 s8, ttmp6, 0x40010
	s_bfe_u32 s9, ttmp6, 0x40004
	s_add_co_i32 s8, s8, 1
	s_wait_dscnt 0x0
	s_mul_i32 s8, ttmp7, s8
	s_barrier_signal -1
	s_add_co_i32 s8, s9, s8
	s_cmp_eq_u32 s1, 0
	s_mov_b32 s9, 0
	s_cselect_b32 s8, ttmp7, s8
	s_barrier_wait -1
	v_cmp_le_i64_e64 s1, s[6:7], s[8:9]
	s_and_b32 vcc_lo, exec_lo, s1
	s_cbranch_vccnz .LBB34_25
; %bb.6:
	s_wait_xcnt 0x0
	s_mul_u64 s[2:3], s[14:15], s[2:3]
	v_dual_mov_b32 v3, 0 :: v_dual_bitop2_b32 v2, 31, v0 bitop3:0x40
	s_lshl_b64 s[10:11], s[2:3], 3
	s_cmp_gt_i32 s4, 1
	s_mul_u64 s[2:3], s[20:21], s[8:9]
	s_cselect_b32 s14, -1, 0
	s_lshl_b64 s[22:23], s[2:3], 3
	s_lshl_b64 s[18:19], s[18:19], 3
	v_cmp_eq_u32_e64 s2, 0, v2
	v_dual_lshlrev_b32 v2, 3, v0 :: v_dual_lshrrev_b32 v14, 2, v0
	s_add_nc_u64 s[18:19], s[22:23], s[18:19]
	v_mbcnt_lo_u32_b32 v13, -1, 0
	s_wait_kmcnt 0x0
	s_add_nc_u64 s[16:17], s[16:17], s[18:19]
	v_cmp_gt_i32_e64 s1, s4, v0
	v_add_nc_u64_e32 v[4:5], s[16:17], v[2:3]
	v_cmp_eq_u32_e64 s3, 0, v0
	v_lshl_or_b32 v2, v13, 2, 64
	v_mov_b32_e32 v15, 0x4008
	v_mov_b32_e32 v16, 0x4018
	;; [unrolled: 1-line block ×15, first 2 shown]
	s_add_nc_u64 s[10:11], s[12:13], s[10:11]
	s_lshl_b64 s[12:13], s[20:21], 9
	s_branch .LBB34_8
.LBB34_7:                               ;   in Loop: Header=BB34_8 Depth=1
	s_or_b32 exec_lo, exec_lo, s15
	s_add_nc_u64 s[8:9], s[8:9], 64
	v_add_nc_u64_e32 v[4:5], s[12:13], v[4:5]
	v_cmp_ge_i64_e64 s15, s[8:9], s[6:7]
	s_and_b32 vcc_lo, exec_lo, s15
	s_cbranch_vccnz .LBB34_25
.LBB34_8:                               ; =>This Loop Header: Depth=1
                                        ;     Child Loop BB34_10 Depth 2
                                        ;     Child Loop BB34_24 Depth 2
	v_mov_b64_e32 v[6:7], 0
	s_and_saveexec_b32 s15, s1
	s_cbranch_execz .LBB34_12
; %bb.9:                                ;   in Loop: Header=BB34_8 Depth=1
	v_mov_b64_e32 v[6:7], 0
	v_mov_b64_e32 v[8:9], v[4:5]
	v_dual_mov_b32 v10, v12 :: v_dual_mov_b32 v11, v0
	s_mov_b32 s16, 0
.LBB34_10:                              ;   Parent Loop BB34_8 Depth=1
                                        ; =>  This Inner Loop Header: Depth=2
	flat_load_b64 v[30:31], v[8:9]
	ds_load_b64 v[32:33], v10
	v_add_nc_u32_e32 v11, 0x400, v11
	s_wait_xcnt 0x0
	v_add_nc_u64_e32 v[8:9], 0x2000, v[8:9]
	v_add_nc_u32_e32 v10, 0x2000, v10
	s_delay_alu instid0(VALU_DEP_3)
	v_cmp_le_i32_e32 vcc_lo, s4, v11
	s_or_b32 s16, vcc_lo, s16
	s_wait_loadcnt_dscnt 0x0
	v_fmac_f64_e32 v[6:7], v[32:33], v[30:31]
	s_and_not1_b32 exec_lo, exec_lo, s16
	s_cbranch_execnz .LBB34_10
; %bb.11:                               ;   in Loop: Header=BB34_8 Depth=1
	s_or_b32 exec_lo, exec_lo, s16
.LBB34_12:                              ;   in Loop: Header=BB34_8 Depth=1
	s_delay_alu instid0(SALU_CYCLE_1) | instskip(NEXT) | instid1(SALU_CYCLE_1)
	s_or_b32 exec_lo, exec_lo, s15
	s_and_b32 vcc_lo, exec_lo, s14
	s_cbranch_vccz .LBB34_19
; %bb.13:                               ;   in Loop: Header=BB34_8 Depth=1
	v_cmp_ne_u32_e32 vcc_lo, 31, v13
	v_add_co_ci_u32_e64 v8, null, 0, v13, vcc_lo
	v_cmp_gt_u32_e32 vcc_lo, 30, v13
	s_delay_alu instid0(VALU_DEP_2)
	v_lshlrev_b32_e32 v9, 2, v8
	v_cndmask_b32_e64 v10, 0, 2, vcc_lo
	v_cmp_gt_u32_e32 vcc_lo, 28, v13
	ds_bpermute_b32 v8, v9, v6
	ds_bpermute_b32 v9, v9, v7
	v_add_lshl_u32 v11, v10, v13, 2
	s_wait_dscnt 0x0
	v_add_f64_e32 v[8:9], v[6:7], v[8:9]
	ds_bpermute_b32 v10, v11, v8
	ds_bpermute_b32 v11, v11, v9
	s_wait_dscnt 0x0
	v_add_f64_e32 v[8:9], v[8:9], v[10:11]
	v_cndmask_b32_e64 v10, 0, 4, vcc_lo
	v_cmp_gt_u32_e32 vcc_lo, 24, v13
	s_delay_alu instid0(VALU_DEP_2)
	v_add_lshl_u32 v11, v10, v13, 2
	ds_bpermute_b32 v10, v11, v8
	ds_bpermute_b32 v11, v11, v9
	s_wait_dscnt 0x0
	v_add_f64_e32 v[8:9], v[8:9], v[10:11]
	v_cndmask_b32_e64 v10, 0, 8, vcc_lo
	s_delay_alu instid0(VALU_DEP_1)
	v_add_lshl_u32 v11, v10, v13, 2
	ds_bpermute_b32 v10, v11, v8
	ds_bpermute_b32 v11, v11, v9
	s_wait_dscnt 0x0
	v_add_f64_e32 v[8:9], v[8:9], v[10:11]
	ds_bpermute_b32 v10, v2, v8
	ds_bpermute_b32 v11, v2, v9
	s_wait_dscnt 0x0
	v_add_f64_e32 v[8:9], v[8:9], v[10:11]
	s_and_saveexec_b32 s15, s2
; %bb.14:                               ;   in Loop: Header=BB34_8 Depth=1
	ds_store_b64 v14, v[8:9] offset:16384
; %bb.15:                               ;   in Loop: Header=BB34_8 Depth=1
	s_or_b32 exec_lo, exec_lo, s15
	s_mov_b32 s16, 0
	s_mov_b32 s15, 0
	s_wait_dscnt 0x0
	s_barrier_signal -1
	s_barrier_wait -1
                                        ; implicit-def: $vgpr10_vgpr11
	s_and_saveexec_b32 s17, s3
	s_delay_alu instid0(SALU_CYCLE_1)
	s_xor_b32 s17, exec_lo, s17
	s_cbranch_execz .LBB34_17
; %bb.16:                               ;   in Loop: Header=BB34_8 Depth=1
	ds_load_2addr_b64 v[30:33], v15 offset1:1
	ds_load_2addr_b64 v[34:37], v16 offset1:1
	s_mov_b32 s15, exec_lo
	s_wait_dscnt 0x1
	v_add_f64_e32 v[8:9], v[8:9], v[30:31]
	s_delay_alu instid0(VALU_DEP_1) | instskip(SKIP_1) | instid1(VALU_DEP_1)
	v_add_f64_e32 v[8:9], v[8:9], v[32:33]
	s_wait_dscnt 0x0
	v_add_f64_e32 v[8:9], v[8:9], v[34:35]
	s_delay_alu instid0(VALU_DEP_1) | instskip(SKIP_4) | instid1(VALU_DEP_1)
	v_add_f64_e32 v[34:35], v[8:9], v[36:37]
	ds_load_2addr_b64 v[8:11], v17 offset1:1
	ds_load_2addr_b64 v[30:33], v18 offset1:1
	s_wait_dscnt 0x1
	v_add_f64_e32 v[8:9], v[34:35], v[8:9]
	v_add_f64_e32 v[8:9], v[8:9], v[10:11]
	s_wait_dscnt 0x0
	s_delay_alu instid0(VALU_DEP_1) | instskip(NEXT) | instid1(VALU_DEP_1)
	v_add_f64_e32 v[8:9], v[8:9], v[30:31]
	v_add_f64_e32 v[34:35], v[8:9], v[32:33]
	ds_load_2addr_b64 v[8:11], v19 offset1:1
	ds_load_2addr_b64 v[30:33], v20 offset1:1
	s_wait_dscnt 0x1
	v_add_f64_e32 v[8:9], v[34:35], v[8:9]
	s_delay_alu instid0(VALU_DEP_1) | instskip(SKIP_1) | instid1(VALU_DEP_1)
	v_add_f64_e32 v[8:9], v[8:9], v[10:11]
	s_wait_dscnt 0x0
	v_add_f64_e32 v[8:9], v[8:9], v[30:31]
	s_delay_alu instid0(VALU_DEP_1) | instskip(SKIP_4) | instid1(VALU_DEP_1)
	v_add_f64_e32 v[34:35], v[8:9], v[32:33]
	ds_load_2addr_b64 v[8:11], v21 offset1:1
	ds_load_2addr_b64 v[30:33], v22 offset1:1
	s_wait_dscnt 0x1
	v_add_f64_e32 v[8:9], v[34:35], v[8:9]
	v_add_f64_e32 v[8:9], v[8:9], v[10:11]
	s_wait_dscnt 0x0
	s_delay_alu instid0(VALU_DEP_1) | instskip(NEXT) | instid1(VALU_DEP_1)
	v_add_f64_e32 v[8:9], v[8:9], v[30:31]
	v_add_f64_e32 v[34:35], v[8:9], v[32:33]
	ds_load_2addr_b64 v[8:11], v23 offset1:1
	ds_load_2addr_b64 v[30:33], v24 offset1:1
	s_wait_dscnt 0x1
	v_add_f64_e32 v[8:9], v[34:35], v[8:9]
	s_delay_alu instid0(VALU_DEP_1) | instskip(SKIP_1) | instid1(VALU_DEP_1)
	v_add_f64_e32 v[8:9], v[8:9], v[10:11]
	s_wait_dscnt 0x0
	v_add_f64_e32 v[8:9], v[8:9], v[30:31]
	s_delay_alu instid0(VALU_DEP_1) | instskip(SKIP_4) | instid1(VALU_DEP_1)
	v_add_f64_e32 v[34:35], v[8:9], v[32:33]
	ds_load_2addr_b64 v[8:11], v25 offset1:1
	ds_load_2addr_b64 v[30:33], v26 offset1:1
	s_wait_dscnt 0x1
	v_add_f64_e32 v[8:9], v[34:35], v[8:9]
	v_add_f64_e32 v[8:9], v[8:9], v[10:11]
	s_wait_dscnt 0x0
	s_delay_alu instid0(VALU_DEP_1) | instskip(NEXT) | instid1(VALU_DEP_1)
	v_add_f64_e32 v[8:9], v[8:9], v[30:31]
	v_add_f64_e32 v[34:35], v[8:9], v[32:33]
	ds_load_2addr_b64 v[8:11], v27 offset1:1
	ds_load_2addr_b64 v[30:33], v28 offset1:1
	s_wait_dscnt 0x1
	v_add_f64_e32 v[8:9], v[34:35], v[8:9]
	s_delay_alu instid0(VALU_DEP_1) | instskip(SKIP_1) | instid1(VALU_DEP_1)
	v_add_f64_e32 v[8:9], v[8:9], v[10:11]
	s_wait_dscnt 0x0
	v_add_f64_e32 v[8:9], v[8:9], v[30:31]
	s_delay_alu instid0(VALU_DEP_1) | instskip(SKIP_4) | instid1(VALU_DEP_1)
	v_add_f64_e32 v[30:31], v[8:9], v[32:33]
	ds_load_2addr_b64 v[8:11], v29 offset1:1
	ds_load_b64 v[32:33], v3 offset:16632
	s_wait_dscnt 0x1
	v_add_f64_e32 v[8:9], v[30:31], v[8:9]
	v_add_f64_e32 v[8:9], v[8:9], v[10:11]
	s_wait_dscnt 0x0
	s_delay_alu instid0(VALU_DEP_1)
	v_add_f64_e32 v[10:11], v[8:9], v[32:33]
.LBB34_17:                              ;   in Loop: Header=BB34_8 Depth=1
	s_or_b32 exec_lo, exec_lo, s17
	s_delay_alu instid0(SALU_CYCLE_1)
	s_and_b32 vcc_lo, exec_lo, s16
	s_cbranch_vccnz .LBB34_20
.LBB34_18:                              ;   in Loop: Header=BB34_8 Depth=1
	s_delay_alu instid0(VALU_DEP_1)
	v_mov_b64_e32 v[6:7], v[10:11]
	s_and_saveexec_b32 s16, s15
	s_cbranch_execnz .LBB34_21
	s_branch .LBB34_22
.LBB34_19:                              ;   in Loop: Header=BB34_8 Depth=1
	s_mov_b32 s15, 0
                                        ; implicit-def: $vgpr10_vgpr11
	s_cbranch_execz .LBB34_18
.LBB34_20:                              ;   in Loop: Header=BB34_8 Depth=1
	s_and_not1_b32 s15, s15, exec_lo
	s_and_b32 s16, s3, exec_lo
	s_delay_alu instid0(SALU_CYCLE_1) | instskip(NEXT) | instid1(SALU_CYCLE_1)
	s_or_b32 s15, s15, s16
	s_and_saveexec_b32 s16, s15
.LBB34_21:                              ;   in Loop: Header=BB34_8 Depth=1
	ds_store_b64 v3, v[6:7] offset:16384
.LBB34_22:                              ;   in Loop: Header=BB34_8 Depth=1
	s_or_b32 exec_lo, exec_lo, s16
	s_wait_dscnt 0x0
	s_barrier_signal -1
	s_barrier_wait -1
	s_and_saveexec_b32 s15, s0
	s_cbranch_execz .LBB34_7
; %bb.23:                               ;   in Loop: Header=BB34_8 Depth=1
	global_load_b64 v[6:7], v3, s[10:11]
	ds_load_b64 v[8:9], v3 offset:16384
	v_mov_b64_e32 v[10:11], v[0:1]
	v_mov_b32_e32 v30, v12
	s_mov_b32 s16, 0
	s_wait_loadcnt_dscnt 0x0
	v_mul_f64_e64 v[6:7], v[8:9], -v[6:7]
	v_mov_b64_e32 v[8:9], v[4:5]
.LBB34_24:                              ;   Parent Loop BB34_8 Depth=1
                                        ; =>  This Inner Loop Header: Depth=2
	flat_load_b64 v[32:33], v[8:9]
	ds_load_b64 v[34:35], v30
	v_add_nc_u64_e32 v[10:11], 0x400, v[10:11]
	v_add_nc_u32_e32 v30, 0x2000, v30
	s_delay_alu instid0(VALU_DEP_2)
	v_cmp_le_i64_e32 vcc_lo, s[4:5], v[10:11]
	s_or_b32 s16, vcc_lo, s16
	s_wait_loadcnt_dscnt 0x0
	v_fmac_f64_e32 v[32:33], v[6:7], v[34:35]
	flat_store_b64 v[8:9], v[32:33]
	s_wait_xcnt 0x0
	v_add_nc_u64_e32 v[8:9], 0x2000, v[8:9]
	s_and_not1_b32 exec_lo, exec_lo, s16
	s_cbranch_execnz .LBB34_24
	s_branch .LBB34_7
.LBB34_25:
	s_endpgm
	.section	.rodata,"a",@progbits
	.p2align	6, 0x0
	.amdhsa_kernel _ZN9rocsolver6v33100L22larf_left_kernel_smallILi1024EdlPKPdEEvT1_S5_T2_lS5_lPKT0_lS6_lS5_l
		.amdhsa_group_segment_fixed_size 24576
		.amdhsa_private_segment_fixed_size 0
		.amdhsa_kernarg_size 96
		.amdhsa_user_sgpr_count 2
		.amdhsa_user_sgpr_dispatch_ptr 0
		.amdhsa_user_sgpr_queue_ptr 0
		.amdhsa_user_sgpr_kernarg_segment_ptr 1
		.amdhsa_user_sgpr_dispatch_id 0
		.amdhsa_user_sgpr_kernarg_preload_length 0
		.amdhsa_user_sgpr_kernarg_preload_offset 0
		.amdhsa_user_sgpr_private_segment_size 0
		.amdhsa_wavefront_size32 1
		.amdhsa_uses_dynamic_stack 0
		.amdhsa_enable_private_segment 0
		.amdhsa_system_sgpr_workgroup_id_x 1
		.amdhsa_system_sgpr_workgroup_id_y 1
		.amdhsa_system_sgpr_workgroup_id_z 0
		.amdhsa_system_sgpr_workgroup_info 0
		.amdhsa_system_vgpr_workitem_id 0
		.amdhsa_next_free_vgpr 38
		.amdhsa_next_free_sgpr 27
		.amdhsa_named_barrier_count 0
		.amdhsa_reserve_vcc 1
		.amdhsa_float_round_mode_32 0
		.amdhsa_float_round_mode_16_64 0
		.amdhsa_float_denorm_mode_32 3
		.amdhsa_float_denorm_mode_16_64 3
		.amdhsa_fp16_overflow 0
		.amdhsa_memory_ordered 1
		.amdhsa_forward_progress 1
		.amdhsa_inst_pref_size 13
		.amdhsa_round_robin_scheduling 0
		.amdhsa_exception_fp_ieee_invalid_op 0
		.amdhsa_exception_fp_denorm_src 0
		.amdhsa_exception_fp_ieee_div_zero 0
		.amdhsa_exception_fp_ieee_overflow 0
		.amdhsa_exception_fp_ieee_underflow 0
		.amdhsa_exception_fp_ieee_inexact 0
		.amdhsa_exception_int_div_zero 0
	.end_amdhsa_kernel
	.section	.text._ZN9rocsolver6v33100L22larf_left_kernel_smallILi1024EdlPKPdEEvT1_S5_T2_lS5_lPKT0_lS6_lS5_l,"axG",@progbits,_ZN9rocsolver6v33100L22larf_left_kernel_smallILi1024EdlPKPdEEvT1_S5_T2_lS5_lPKT0_lS6_lS5_l,comdat
.Lfunc_end34:
	.size	_ZN9rocsolver6v33100L22larf_left_kernel_smallILi1024EdlPKPdEEvT1_S5_T2_lS5_lPKT0_lS6_lS5_l, .Lfunc_end34-_ZN9rocsolver6v33100L22larf_left_kernel_smallILi1024EdlPKPdEEvT1_S5_T2_lS5_lPKT0_lS6_lS5_l
                                        ; -- End function
	.set _ZN9rocsolver6v33100L22larf_left_kernel_smallILi1024EdlPKPdEEvT1_S5_T2_lS5_lPKT0_lS6_lS5_l.num_vgpr, 38
	.set _ZN9rocsolver6v33100L22larf_left_kernel_smallILi1024EdlPKPdEEvT1_S5_T2_lS5_lPKT0_lS6_lS5_l.num_agpr, 0
	.set _ZN9rocsolver6v33100L22larf_left_kernel_smallILi1024EdlPKPdEEvT1_S5_T2_lS5_lPKT0_lS6_lS5_l.numbered_sgpr, 27
	.set _ZN9rocsolver6v33100L22larf_left_kernel_smallILi1024EdlPKPdEEvT1_S5_T2_lS5_lPKT0_lS6_lS5_l.num_named_barrier, 0
	.set _ZN9rocsolver6v33100L22larf_left_kernel_smallILi1024EdlPKPdEEvT1_S5_T2_lS5_lPKT0_lS6_lS5_l.private_seg_size, 0
	.set _ZN9rocsolver6v33100L22larf_left_kernel_smallILi1024EdlPKPdEEvT1_S5_T2_lS5_lPKT0_lS6_lS5_l.uses_vcc, 1
	.set _ZN9rocsolver6v33100L22larf_left_kernel_smallILi1024EdlPKPdEEvT1_S5_T2_lS5_lPKT0_lS6_lS5_l.uses_flat_scratch, 0
	.set _ZN9rocsolver6v33100L22larf_left_kernel_smallILi1024EdlPKPdEEvT1_S5_T2_lS5_lPKT0_lS6_lS5_l.has_dyn_sized_stack, 0
	.set _ZN9rocsolver6v33100L22larf_left_kernel_smallILi1024EdlPKPdEEvT1_S5_T2_lS5_lPKT0_lS6_lS5_l.has_recursion, 0
	.set _ZN9rocsolver6v33100L22larf_left_kernel_smallILi1024EdlPKPdEEvT1_S5_T2_lS5_lPKT0_lS6_lS5_l.has_indirect_call, 0
	.section	.AMDGPU.csdata,"",@progbits
; Kernel info:
; codeLenInByte = 1620
; TotalNumSgprs: 29
; NumVgprs: 38
; ScratchSize: 0
; MemoryBound: 0
; FloatMode: 240
; IeeeMode: 1
; LDSByteSize: 24576 bytes/workgroup (compile time only)
; SGPRBlocks: 0
; VGPRBlocks: 2
; NumSGPRsForWavesPerEU: 29
; NumVGPRsForWavesPerEU: 38
; NamedBarCnt: 0
; Occupancy: 16
; WaveLimiterHint : 0
; COMPUTE_PGM_RSRC2:SCRATCH_EN: 0
; COMPUTE_PGM_RSRC2:USER_SGPR: 2
; COMPUTE_PGM_RSRC2:TRAP_HANDLER: 0
; COMPUTE_PGM_RSRC2:TGID_X_EN: 1
; COMPUTE_PGM_RSRC2:TGID_Y_EN: 1
; COMPUTE_PGM_RSRC2:TGID_Z_EN: 0
; COMPUTE_PGM_RSRC2:TIDIG_COMP_CNT: 0
	.section	.text._ZN9rocsolver6v33100L23larf_right_kernel_smallILi64EdlPKPdEEvT1_S5_T2_lS5_lPKT0_lS6_lS5_l,"axG",@progbits,_ZN9rocsolver6v33100L23larf_right_kernel_smallILi64EdlPKPdEEvT1_S5_T2_lS5_lPKT0_lS6_lS5_l,comdat
	.globl	_ZN9rocsolver6v33100L23larf_right_kernel_smallILi64EdlPKPdEEvT1_S5_T2_lS5_lPKT0_lS6_lS5_l ; -- Begin function _ZN9rocsolver6v33100L23larf_right_kernel_smallILi64EdlPKPdEEvT1_S5_T2_lS5_lPKT0_lS6_lS5_l
	.p2align	8
	.type	_ZN9rocsolver6v33100L23larf_right_kernel_smallILi64EdlPKPdEEvT1_S5_T2_lS5_lPKT0_lS6_lS5_l,@function
_ZN9rocsolver6v33100L23larf_right_kernel_smallILi64EdlPKPdEEvT1_S5_T2_lS5_lPKT0_lS6_lS5_l: ; @_ZN9rocsolver6v33100L23larf_right_kernel_smallILi64EdlPKPdEEvT1_S5_T2_lS5_lPKT0_lS6_lS5_l
; %bb.0:
	s_clause 0x3
	s_load_b64 s[22:23], s[0:1], 0x20
	s_load_b256 s[4:11], s[0:1], 0x0
	s_load_b256 s[12:19], s[0:1], 0x30
	s_load_b64 s[20:21], s[0:1], 0x50
	s_wait_xcnt 0x0
	s_bfe_u32 s0, ttmp6, 0x4000c
	s_and_b32 s2, ttmp6, 15
	s_add_co_i32 s0, s0, 1
	s_getreg_b32 s1, hwreg(HW_REG_IB_STS2, 6, 4)
	s_mul_i32 s0, ttmp9, s0
	s_mov_b32 s3, 0
	s_add_co_i32 s2, s2, s0
	s_cmp_eq_u32 s1, 0
	s_cselect_b32 s2, ttmp9, s2
	s_wait_kmcnt 0x0
	v_cmp_gt_i64_e64 s24, s[22:23], 0
	s_and_b32 vcc_lo, exec_lo, s24
	s_mov_b64 s[24:25], 0
	s_cbranch_vccnz .LBB35_2
; %bb.1:
	s_sub_nc_u64 s[24:25], 1, s[6:7]
	s_delay_alu instid0(SALU_CYCLE_1)
	s_mul_u64 s[24:25], s[22:23], s[24:25]
.LBB35_2:
	s_load_b64 s[16:17], s[16:17], s2 offset:0x0 scale_offset
	v_dual_mov_b32 v1, 0 :: v_dual_lshlrev_b32 v10, 3, v0
	s_delay_alu instid0(VALU_DEP_1)
	v_cmp_gt_i64_e64 s0, s[6:7], v[0:1]
	s_and_saveexec_b32 s26, s0
	s_cbranch_execz .LBB35_5
; %bb.3:
	v_mul_u64_e32 v[2:3], s[22:23], v[0:1]
	s_load_b64 s[8:9], s[8:9], s2 offset:0x0 scale_offset
	s_lshl_b64 s[10:11], s[10:11], 3
	s_lshl_b64 s[24:25], s[24:25], 3
	v_mov_b64_e32 v[4:5], v[0:1]
	v_lshlrev_b32_e32 v6, 3, v0
	s_wait_kmcnt 0x0
	s_add_nc_u64 s[8:9], s[8:9], s[10:11]
	s_mov_b32 s10, 0
	s_add_nc_u64 s[8:9], s[8:9], s[24:25]
	s_delay_alu instid0(VALU_DEP_3) | instid1(SALU_CYCLE_1)
	v_lshl_add_u64 v[2:3], v[2:3], 3, s[8:9]
	s_lshl_b64 s[8:9], s[22:23], 9
.LBB35_4:                               ; =>This Inner Loop Header: Depth=1
	flat_load_b64 v[8:9], v[2:3]
	v_add_nc_u64_e32 v[4:5], 64, v[4:5]
	s_wait_xcnt 0x0
	v_add_nc_u64_e32 v[2:3], s[8:9], v[2:3]
	s_delay_alu instid0(VALU_DEP_2)
	v_cmp_le_i64_e32 vcc_lo, s[6:7], v[4:5]
	s_or_b32 s10, vcc_lo, s10
	s_wait_loadcnt_dscnt 0x0
	ds_store_b64 v6, v[8:9]
	v_add_nc_u32_e32 v6, 0x200, v6
	s_and_not1_b32 exec_lo, exec_lo, s10
	s_cbranch_execnz .LBB35_4
.LBB35_5:
	s_or_b32 exec_lo, exec_lo, s26
	s_bfe_u32 s8, ttmp6, 0x40010
	s_bfe_u32 s9, ttmp6, 0x40004
	s_add_co_i32 s8, s8, 1
	s_wait_dscnt 0x0
	s_mul_i32 s8, ttmp7, s8
	s_barrier_signal -1
	s_add_co_i32 s8, s9, s8
	s_cmp_eq_u32 s1, 0
	s_mov_b32 s9, 0
	s_cselect_b32 s8, ttmp7, s8
	s_barrier_wait -1
	v_cmp_le_i64_e64 s1, s[4:5], s[8:9]
	s_and_b32 vcc_lo, exec_lo, s1
	s_cbranch_vccnz .LBB35_25
; %bb.6:
	v_mul_u64_e32 v[2:3], s[20:21], v[0:1]
	s_mul_u64 s[10:11], s[14:15], s[2:3]
	s_lshl_b64 s[22:23], s[18:19], 3
	s_lshl_b64 s[14:15], s[10:11], 3
	s_cmp_gt_i32 s6, 1
	v_mul_lo_u32 v12, v0, s20
	s_cselect_b32 s18, -1, 0
	s_lshl_b64 s[24:25], s[8:9], 3
	v_dual_lshrrev_b32 v11, 2, v0 :: v_dual_bitop2_b32 v4, 31, v0 bitop3:0x40
	v_mbcnt_lo_u32_b32 v13, -1, 0
	s_wait_kmcnt 0x0
	s_add_nc_u64 s[10:11], s[16:17], s[22:23]
	s_add_nc_u64 s[16:17], s[16:17], s[24:25]
	v_cmp_gt_i32_e64 s1, s6, v0
	s_add_nc_u64 s[16:17], s[16:17], s[22:23]
	v_cmp_eq_u32_e64 s2, 0, v0
	v_cmp_eq_u32_e64 s3, 0, v4
	v_lshl_or_b32 v14, v13, 2, 64
	v_mov_b32_e32 v15, 0
	s_add_nc_u64 s[12:13], s[12:13], s[14:15]
	s_lshl_b32 s19, s20, 6
	s_lshl_b64 s[14:15], s[20:21], 9
	v_lshl_add_u64 v[2:3], v[2:3], 3, s[16:17]
	s_branch .LBB35_8
.LBB35_7:                               ;   in Loop: Header=BB35_8 Depth=1
	s_or_b32 exec_lo, exec_lo, s16
	s_add_nc_u64 s[8:9], s[8:9], 64
	v_add_nc_u64_e32 v[2:3], 0x200, v[2:3]
	v_cmp_ge_i64_e64 s16, s[8:9], s[4:5]
	s_and_b32 vcc_lo, exec_lo, s16
	s_cbranch_vccnz .LBB35_25
.LBB35_8:                               ; =>This Loop Header: Depth=1
                                        ;     Child Loop BB35_10 Depth 2
                                        ;     Child Loop BB35_24 Depth 2
	v_mov_b64_e32 v[4:5], 0
	s_and_saveexec_b32 s20, s1
	s_cbranch_execz .LBB35_12
; %bb.9:                                ;   in Loop: Header=BB35_8 Depth=1
	v_mov_b64_e32 v[4:5], 0
	v_dual_mov_b32 v6, v12 :: v_dual_mov_b32 v7, v10
	v_mov_b32_e32 v8, v0
	s_lshl_b64 s[16:17], s[8:9], 3
	s_mov_b32 s21, 0
	s_add_nc_u64 s[16:17], s[10:11], s[16:17]
.LBB35_10:                              ;   Parent Loop BB35_8 Depth=1
                                        ; =>  This Inner Loop Header: Depth=2
	flat_load_b64 v[16:17], v6, s[16:17] scale_offset
	ds_load_b64 v[18:19], v7
	s_wait_xcnt 0x0
	v_dual_add_nc_u32 v8, 64, v8 :: v_dual_add_nc_u32 v6, s19, v6
	v_add_nc_u32_e32 v7, 0x200, v7
	s_delay_alu instid0(VALU_DEP_2)
	v_cmp_le_i32_e32 vcc_lo, s6, v8
	s_or_b32 s21, vcc_lo, s21
	s_wait_loadcnt_dscnt 0x0
	v_fmac_f64_e32 v[4:5], v[18:19], v[16:17]
	s_and_not1_b32 exec_lo, exec_lo, s21
	s_cbranch_execnz .LBB35_10
; %bb.11:                               ;   in Loop: Header=BB35_8 Depth=1
	s_or_b32 exec_lo, exec_lo, s21
.LBB35_12:                              ;   in Loop: Header=BB35_8 Depth=1
	s_delay_alu instid0(SALU_CYCLE_1) | instskip(NEXT) | instid1(SALU_CYCLE_1)
	s_or_b32 exec_lo, exec_lo, s20
	s_and_b32 vcc_lo, exec_lo, s18
	s_cbranch_vccz .LBB35_19
; %bb.13:                               ;   in Loop: Header=BB35_8 Depth=1
	v_cmp_ne_u32_e32 vcc_lo, 31, v13
	v_add_co_ci_u32_e64 v6, null, 0, v13, vcc_lo
	v_cmp_gt_u32_e32 vcc_lo, 30, v13
	s_delay_alu instid0(VALU_DEP_2)
	v_lshlrev_b32_e32 v7, 2, v6
	v_cndmask_b32_e64 v8, 0, 2, vcc_lo
	v_cmp_gt_u32_e32 vcc_lo, 28, v13
	ds_bpermute_b32 v6, v7, v4
	ds_bpermute_b32 v7, v7, v5
	v_add_lshl_u32 v9, v8, v13, 2
	s_wait_dscnt 0x0
	v_add_f64_e32 v[6:7], v[4:5], v[6:7]
	ds_bpermute_b32 v8, v9, v6
	ds_bpermute_b32 v9, v9, v7
	s_wait_dscnt 0x0
	v_add_f64_e32 v[6:7], v[6:7], v[8:9]
	v_cndmask_b32_e64 v8, 0, 4, vcc_lo
	v_cmp_gt_u32_e32 vcc_lo, 24, v13
	s_delay_alu instid0(VALU_DEP_2)
	v_add_lshl_u32 v9, v8, v13, 2
	ds_bpermute_b32 v8, v9, v6
	ds_bpermute_b32 v9, v9, v7
	s_wait_dscnt 0x0
	v_add_f64_e32 v[6:7], v[6:7], v[8:9]
	v_cndmask_b32_e64 v8, 0, 8, vcc_lo
	s_delay_alu instid0(VALU_DEP_1)
	v_add_lshl_u32 v9, v8, v13, 2
	ds_bpermute_b32 v8, v9, v6
	ds_bpermute_b32 v9, v9, v7
	s_wait_dscnt 0x0
	v_add_f64_e32 v[6:7], v[6:7], v[8:9]
	ds_bpermute_b32 v8, v14, v6
	ds_bpermute_b32 v9, v14, v7
	s_wait_dscnt 0x0
	v_add_f64_e32 v[8:9], v[6:7], v[8:9]
	s_and_saveexec_b32 s16, s3
; %bb.14:                               ;   in Loop: Header=BB35_8 Depth=1
	ds_store_b64 v11, v[8:9] offset:16384
; %bb.15:                               ;   in Loop: Header=BB35_8 Depth=1
	s_or_b32 exec_lo, exec_lo, s16
	s_mov_b32 s17, 0
	s_mov_b32 s16, 0
	s_wait_dscnt 0x0
	s_barrier_signal -1
	s_barrier_wait -1
                                        ; implicit-def: $vgpr6_vgpr7
	s_and_saveexec_b32 s20, s2
	s_delay_alu instid0(SALU_CYCLE_1)
	s_xor_b32 s20, exec_lo, s20
	s_cbranch_execz .LBB35_17
; %bb.16:                               ;   in Loop: Header=BB35_8 Depth=1
	ds_load_b64 v[6:7], v15 offset:16392
	s_mov_b32 s16, exec_lo
	s_wait_dscnt 0x0
	v_add_f64_e32 v[6:7], v[8:9], v[6:7]
.LBB35_17:                              ;   in Loop: Header=BB35_8 Depth=1
	s_or_b32 exec_lo, exec_lo, s20
	s_delay_alu instid0(SALU_CYCLE_1)
	s_and_b32 vcc_lo, exec_lo, s17
	s_cbranch_vccnz .LBB35_20
.LBB35_18:                              ;   in Loop: Header=BB35_8 Depth=1
	s_delay_alu instid0(VALU_DEP_1)
	v_mov_b64_e32 v[4:5], v[6:7]
	s_and_saveexec_b32 s17, s16
	s_cbranch_execnz .LBB35_21
	s_branch .LBB35_22
.LBB35_19:                              ;   in Loop: Header=BB35_8 Depth=1
	s_mov_b32 s16, 0
                                        ; implicit-def: $vgpr6_vgpr7
	s_cbranch_execz .LBB35_18
.LBB35_20:                              ;   in Loop: Header=BB35_8 Depth=1
	s_and_not1_b32 s16, s16, exec_lo
	s_and_b32 s17, s2, exec_lo
	s_delay_alu instid0(SALU_CYCLE_1) | instskip(NEXT) | instid1(SALU_CYCLE_1)
	s_or_b32 s16, s16, s17
	s_and_saveexec_b32 s17, s16
.LBB35_21:                              ;   in Loop: Header=BB35_8 Depth=1
	ds_store_b64 v15, v[4:5] offset:16384
.LBB35_22:                              ;   in Loop: Header=BB35_8 Depth=1
	s_or_b32 exec_lo, exec_lo, s17
	s_wait_dscnt 0x0
	s_barrier_signal -1
	s_barrier_wait -1
	s_and_saveexec_b32 s16, s0
	s_cbranch_execz .LBB35_7
; %bb.23:                               ;   in Loop: Header=BB35_8 Depth=1
	global_load_b64 v[4:5], v15, s[12:13]
	ds_load_b64 v[6:7], v15 offset:16384
	v_mov_b64_e32 v[8:9], v[0:1]
	v_mov_b32_e32 v16, v10
	s_mov_b32 s17, 0
	s_wait_loadcnt_dscnt 0x0
	v_mul_f64_e64 v[4:5], v[6:7], -v[4:5]
	v_mov_b64_e32 v[6:7], v[2:3]
.LBB35_24:                              ;   Parent Loop BB35_8 Depth=1
                                        ; =>  This Inner Loop Header: Depth=2
	flat_load_b64 v[18:19], v[6:7]
	ds_load_b64 v[20:21], v16
	v_add_nc_u64_e32 v[8:9], 64, v[8:9]
	v_add_nc_u32_e32 v16, 0x200, v16
	s_delay_alu instid0(VALU_DEP_2)
	v_cmp_le_i64_e32 vcc_lo, s[6:7], v[8:9]
	s_or_b32 s17, vcc_lo, s17
	s_wait_loadcnt_dscnt 0x0
	v_fmac_f64_e32 v[18:19], v[4:5], v[20:21]
	flat_store_b64 v[6:7], v[18:19]
	s_wait_xcnt 0x0
	v_add_nc_u64_e32 v[6:7], s[14:15], v[6:7]
	s_and_not1_b32 exec_lo, exec_lo, s17
	s_cbranch_execnz .LBB35_24
	s_branch .LBB35_7
.LBB35_25:
	s_endpgm
	.section	.rodata,"a",@progbits
	.p2align	6, 0x0
	.amdhsa_kernel _ZN9rocsolver6v33100L23larf_right_kernel_smallILi64EdlPKPdEEvT1_S5_T2_lS5_lPKT0_lS6_lS5_l
		.amdhsa_group_segment_fixed_size 16400
		.amdhsa_private_segment_fixed_size 0
		.amdhsa_kernarg_size 96
		.amdhsa_user_sgpr_count 2
		.amdhsa_user_sgpr_dispatch_ptr 0
		.amdhsa_user_sgpr_queue_ptr 0
		.amdhsa_user_sgpr_kernarg_segment_ptr 1
		.amdhsa_user_sgpr_dispatch_id 0
		.amdhsa_user_sgpr_kernarg_preload_length 0
		.amdhsa_user_sgpr_kernarg_preload_offset 0
		.amdhsa_user_sgpr_private_segment_size 0
		.amdhsa_wavefront_size32 1
		.amdhsa_uses_dynamic_stack 0
		.amdhsa_enable_private_segment 0
		.amdhsa_system_sgpr_workgroup_id_x 1
		.amdhsa_system_sgpr_workgroup_id_y 1
		.amdhsa_system_sgpr_workgroup_id_z 0
		.amdhsa_system_sgpr_workgroup_info 0
		.amdhsa_system_vgpr_workitem_id 0
		.amdhsa_next_free_vgpr 113
		.amdhsa_next_free_sgpr 27
		.amdhsa_named_barrier_count 0
		.amdhsa_reserve_vcc 1
		.amdhsa_float_round_mode_32 0
		.amdhsa_float_round_mode_16_64 0
		.amdhsa_float_denorm_mode_32 3
		.amdhsa_float_denorm_mode_16_64 3
		.amdhsa_fp16_overflow 0
		.amdhsa_memory_ordered 1
		.amdhsa_forward_progress 1
		.amdhsa_inst_pref_size 10
		.amdhsa_round_robin_scheduling 0
		.amdhsa_exception_fp_ieee_invalid_op 0
		.amdhsa_exception_fp_denorm_src 0
		.amdhsa_exception_fp_ieee_div_zero 0
		.amdhsa_exception_fp_ieee_overflow 0
		.amdhsa_exception_fp_ieee_underflow 0
		.amdhsa_exception_fp_ieee_inexact 0
		.amdhsa_exception_int_div_zero 0
	.end_amdhsa_kernel
	.section	.text._ZN9rocsolver6v33100L23larf_right_kernel_smallILi64EdlPKPdEEvT1_S5_T2_lS5_lPKT0_lS6_lS5_l,"axG",@progbits,_ZN9rocsolver6v33100L23larf_right_kernel_smallILi64EdlPKPdEEvT1_S5_T2_lS5_lPKT0_lS6_lS5_l,comdat
.Lfunc_end35:
	.size	_ZN9rocsolver6v33100L23larf_right_kernel_smallILi64EdlPKPdEEvT1_S5_T2_lS5_lPKT0_lS6_lS5_l, .Lfunc_end35-_ZN9rocsolver6v33100L23larf_right_kernel_smallILi64EdlPKPdEEvT1_S5_T2_lS5_lPKT0_lS6_lS5_l
                                        ; -- End function
	.set _ZN9rocsolver6v33100L23larf_right_kernel_smallILi64EdlPKPdEEvT1_S5_T2_lS5_lPKT0_lS6_lS5_l.num_vgpr, 22
	.set _ZN9rocsolver6v33100L23larf_right_kernel_smallILi64EdlPKPdEEvT1_S5_T2_lS5_lPKT0_lS6_lS5_l.num_agpr, 0
	.set _ZN9rocsolver6v33100L23larf_right_kernel_smallILi64EdlPKPdEEvT1_S5_T2_lS5_lPKT0_lS6_lS5_l.numbered_sgpr, 27
	.set _ZN9rocsolver6v33100L23larf_right_kernel_smallILi64EdlPKPdEEvT1_S5_T2_lS5_lPKT0_lS6_lS5_l.num_named_barrier, 0
	.set _ZN9rocsolver6v33100L23larf_right_kernel_smallILi64EdlPKPdEEvT1_S5_T2_lS5_lPKT0_lS6_lS5_l.private_seg_size, 0
	.set _ZN9rocsolver6v33100L23larf_right_kernel_smallILi64EdlPKPdEEvT1_S5_T2_lS5_lPKT0_lS6_lS5_l.uses_vcc, 1
	.set _ZN9rocsolver6v33100L23larf_right_kernel_smallILi64EdlPKPdEEvT1_S5_T2_lS5_lPKT0_lS6_lS5_l.uses_flat_scratch, 0
	.set _ZN9rocsolver6v33100L23larf_right_kernel_smallILi64EdlPKPdEEvT1_S5_T2_lS5_lPKT0_lS6_lS5_l.has_dyn_sized_stack, 0
	.set _ZN9rocsolver6v33100L23larf_right_kernel_smallILi64EdlPKPdEEvT1_S5_T2_lS5_lPKT0_lS6_lS5_l.has_recursion, 0
	.set _ZN9rocsolver6v33100L23larf_right_kernel_smallILi64EdlPKPdEEvT1_S5_T2_lS5_lPKT0_lS6_lS5_l.has_indirect_call, 0
	.section	.AMDGPU.csdata,"",@progbits
; Kernel info:
; codeLenInByte = 1156
; TotalNumSgprs: 29
; NumVgprs: 22
; ScratchSize: 0
; MemoryBound: 0
; FloatMode: 240
; IeeeMode: 1
; LDSByteSize: 16400 bytes/workgroup (compile time only)
; SGPRBlocks: 0
; VGPRBlocks: 7
; NumSGPRsForWavesPerEU: 29
; NumVGPRsForWavesPerEU: 113
; NamedBarCnt: 0
; Occupancy: 8
; WaveLimiterHint : 1
; COMPUTE_PGM_RSRC2:SCRATCH_EN: 0
; COMPUTE_PGM_RSRC2:USER_SGPR: 2
; COMPUTE_PGM_RSRC2:TRAP_HANDLER: 0
; COMPUTE_PGM_RSRC2:TGID_X_EN: 1
; COMPUTE_PGM_RSRC2:TGID_Y_EN: 1
; COMPUTE_PGM_RSRC2:TGID_Z_EN: 0
; COMPUTE_PGM_RSRC2:TIDIG_COMP_CNT: 0
	.section	.text._ZN9rocsolver6v33100L23larf_right_kernel_smallILi128EdlPKPdEEvT1_S5_T2_lS5_lPKT0_lS6_lS5_l,"axG",@progbits,_ZN9rocsolver6v33100L23larf_right_kernel_smallILi128EdlPKPdEEvT1_S5_T2_lS5_lPKT0_lS6_lS5_l,comdat
	.globl	_ZN9rocsolver6v33100L23larf_right_kernel_smallILi128EdlPKPdEEvT1_S5_T2_lS5_lPKT0_lS6_lS5_l ; -- Begin function _ZN9rocsolver6v33100L23larf_right_kernel_smallILi128EdlPKPdEEvT1_S5_T2_lS5_lPKT0_lS6_lS5_l
	.p2align	8
	.type	_ZN9rocsolver6v33100L23larf_right_kernel_smallILi128EdlPKPdEEvT1_S5_T2_lS5_lPKT0_lS6_lS5_l,@function
_ZN9rocsolver6v33100L23larf_right_kernel_smallILi128EdlPKPdEEvT1_S5_T2_lS5_lPKT0_lS6_lS5_l: ; @_ZN9rocsolver6v33100L23larf_right_kernel_smallILi128EdlPKPdEEvT1_S5_T2_lS5_lPKT0_lS6_lS5_l
; %bb.0:
	s_clause 0x3
	s_load_b64 s[22:23], s[0:1], 0x20
	s_load_b256 s[4:11], s[0:1], 0x0
	s_load_b256 s[12:19], s[0:1], 0x30
	s_load_b64 s[20:21], s[0:1], 0x50
	s_wait_xcnt 0x0
	s_bfe_u32 s0, ttmp6, 0x4000c
	s_and_b32 s2, ttmp6, 15
	s_add_co_i32 s0, s0, 1
	s_getreg_b32 s1, hwreg(HW_REG_IB_STS2, 6, 4)
	s_mul_i32 s0, ttmp9, s0
	s_mov_b32 s3, 0
	s_add_co_i32 s2, s2, s0
	s_cmp_eq_u32 s1, 0
	s_cselect_b32 s2, ttmp9, s2
	s_wait_kmcnt 0x0
	v_cmp_gt_i64_e64 s24, s[22:23], 0
	s_and_b32 vcc_lo, exec_lo, s24
	s_mov_b64 s[24:25], 0
	s_cbranch_vccnz .LBB36_2
; %bb.1:
	s_sub_nc_u64 s[24:25], 1, s[6:7]
	s_delay_alu instid0(SALU_CYCLE_1)
	s_mul_u64 s[24:25], s[22:23], s[24:25]
.LBB36_2:
	s_load_b64 s[16:17], s[16:17], s2 offset:0x0 scale_offset
	v_dual_mov_b32 v1, 0 :: v_dual_lshlrev_b32 v10, 3, v0
	s_delay_alu instid0(VALU_DEP_1)
	v_cmp_gt_i64_e64 s0, s[6:7], v[0:1]
	s_and_saveexec_b32 s26, s0
	s_cbranch_execz .LBB36_5
; %bb.3:
	v_mul_u64_e32 v[2:3], s[22:23], v[0:1]
	s_load_b64 s[8:9], s[8:9], s2 offset:0x0 scale_offset
	s_lshl_b64 s[10:11], s[10:11], 3
	s_lshl_b64 s[24:25], s[24:25], 3
	v_mov_b64_e32 v[4:5], v[0:1]
	v_lshlrev_b32_e32 v6, 3, v0
	s_wait_kmcnt 0x0
	s_add_nc_u64 s[8:9], s[8:9], s[10:11]
	s_mov_b32 s10, 0
	s_add_nc_u64 s[8:9], s[8:9], s[24:25]
	s_delay_alu instid0(VALU_DEP_3) | instid1(SALU_CYCLE_1)
	v_lshl_add_u64 v[2:3], v[2:3], 3, s[8:9]
	s_lshl_b64 s[8:9], s[22:23], 10
.LBB36_4:                               ; =>This Inner Loop Header: Depth=1
	flat_load_b64 v[8:9], v[2:3]
	v_add_nc_u64_e32 v[4:5], 0x80, v[4:5]
	s_wait_xcnt 0x0
	v_add_nc_u64_e32 v[2:3], s[8:9], v[2:3]
	s_delay_alu instid0(VALU_DEP_2)
	v_cmp_le_i64_e32 vcc_lo, s[6:7], v[4:5]
	s_or_b32 s10, vcc_lo, s10
	s_wait_loadcnt_dscnt 0x0
	ds_store_b64 v6, v[8:9]
	v_add_nc_u32_e32 v6, 0x400, v6
	s_and_not1_b32 exec_lo, exec_lo, s10
	s_cbranch_execnz .LBB36_4
.LBB36_5:
	s_or_b32 exec_lo, exec_lo, s26
	s_bfe_u32 s8, ttmp6, 0x40010
	s_bfe_u32 s9, ttmp6, 0x40004
	s_add_co_i32 s8, s8, 1
	s_wait_dscnt 0x0
	s_mul_i32 s8, ttmp7, s8
	s_barrier_signal -1
	s_add_co_i32 s8, s9, s8
	s_cmp_eq_u32 s1, 0
	s_mov_b32 s9, 0
	s_cselect_b32 s8, ttmp7, s8
	s_barrier_wait -1
	v_cmp_le_i64_e64 s1, s[4:5], s[8:9]
	s_and_b32 vcc_lo, exec_lo, s1
	s_cbranch_vccnz .LBB36_25
; %bb.6:
	v_mul_u64_e32 v[2:3], s[20:21], v[0:1]
	s_mul_u64 s[10:11], s[14:15], s[2:3]
	s_lshl_b64 s[22:23], s[18:19], 3
	s_lshl_b64 s[14:15], s[10:11], 3
	s_cmp_gt_i32 s6, 1
	v_mul_lo_u32 v12, v0, s20
	s_cselect_b32 s18, -1, 0
	s_lshl_b64 s[24:25], s[8:9], 3
	v_dual_lshrrev_b32 v11, 2, v0 :: v_dual_bitop2_b32 v4, 31, v0 bitop3:0x40
	v_mbcnt_lo_u32_b32 v13, -1, 0
	s_wait_kmcnt 0x0
	s_add_nc_u64 s[10:11], s[16:17], s[22:23]
	s_add_nc_u64 s[16:17], s[16:17], s[24:25]
	v_cmp_gt_i32_e64 s1, s6, v0
	s_add_nc_u64 s[16:17], s[16:17], s[22:23]
	v_cmp_eq_u32_e64 s2, 0, v0
	v_mov_b32_e32 v14, 0x4008
	v_cmp_eq_u32_e64 s3, 0, v4
	v_lshl_or_b32 v15, v13, 2, 64
	v_mov_b32_e32 v16, 0
	s_add_nc_u64 s[12:13], s[12:13], s[14:15]
	s_lshl_b32 s19, s20, 7
	s_lshl_b64 s[14:15], s[20:21], 10
	v_lshl_add_u64 v[2:3], v[2:3], 3, s[16:17]
	s_branch .LBB36_8
.LBB36_7:                               ;   in Loop: Header=BB36_8 Depth=1
	s_or_b32 exec_lo, exec_lo, s16
	s_add_nc_u64 s[8:9], s[8:9], 64
	v_add_nc_u64_e32 v[2:3], 0x200, v[2:3]
	v_cmp_ge_i64_e64 s16, s[8:9], s[4:5]
	s_and_b32 vcc_lo, exec_lo, s16
	s_cbranch_vccnz .LBB36_25
.LBB36_8:                               ; =>This Loop Header: Depth=1
                                        ;     Child Loop BB36_10 Depth 2
                                        ;     Child Loop BB36_24 Depth 2
	v_mov_b64_e32 v[4:5], 0
	s_and_saveexec_b32 s20, s1
	s_cbranch_execz .LBB36_12
; %bb.9:                                ;   in Loop: Header=BB36_8 Depth=1
	v_mov_b64_e32 v[4:5], 0
	v_dual_mov_b32 v6, v12 :: v_dual_mov_b32 v7, v10
	v_mov_b32_e32 v8, v0
	s_lshl_b64 s[16:17], s[8:9], 3
	s_mov_b32 s21, 0
	s_add_nc_u64 s[16:17], s[10:11], s[16:17]
.LBB36_10:                              ;   Parent Loop BB36_8 Depth=1
                                        ; =>  This Inner Loop Header: Depth=2
	flat_load_b64 v[18:19], v6, s[16:17] scale_offset
	ds_load_b64 v[20:21], v7
	v_add_nc_u32_e32 v8, 0x80, v8
	v_add_nc_u32_e32 v7, 0x400, v7
	s_wait_xcnt 0x0
	v_add_nc_u32_e32 v6, s19, v6
	s_delay_alu instid0(VALU_DEP_3)
	v_cmp_le_i32_e32 vcc_lo, s6, v8
	s_or_b32 s21, vcc_lo, s21
	s_wait_loadcnt_dscnt 0x0
	v_fmac_f64_e32 v[4:5], v[20:21], v[18:19]
	s_and_not1_b32 exec_lo, exec_lo, s21
	s_cbranch_execnz .LBB36_10
; %bb.11:                               ;   in Loop: Header=BB36_8 Depth=1
	s_or_b32 exec_lo, exec_lo, s21
.LBB36_12:                              ;   in Loop: Header=BB36_8 Depth=1
	s_delay_alu instid0(SALU_CYCLE_1) | instskip(NEXT) | instid1(SALU_CYCLE_1)
	s_or_b32 exec_lo, exec_lo, s20
	s_and_b32 vcc_lo, exec_lo, s18
	s_cbranch_vccz .LBB36_19
; %bb.13:                               ;   in Loop: Header=BB36_8 Depth=1
	v_cmp_ne_u32_e32 vcc_lo, 31, v13
	v_add_co_ci_u32_e64 v6, null, 0, v13, vcc_lo
	v_cmp_gt_u32_e32 vcc_lo, 30, v13
	s_delay_alu instid0(VALU_DEP_2)
	v_lshlrev_b32_e32 v7, 2, v6
	v_cndmask_b32_e64 v8, 0, 2, vcc_lo
	v_cmp_gt_u32_e32 vcc_lo, 28, v13
	ds_bpermute_b32 v6, v7, v4
	ds_bpermute_b32 v7, v7, v5
	v_add_lshl_u32 v9, v8, v13, 2
	s_wait_dscnt 0x0
	v_add_f64_e32 v[6:7], v[4:5], v[6:7]
	ds_bpermute_b32 v8, v9, v6
	ds_bpermute_b32 v9, v9, v7
	s_wait_dscnt 0x0
	v_add_f64_e32 v[6:7], v[6:7], v[8:9]
	v_cndmask_b32_e64 v8, 0, 4, vcc_lo
	v_cmp_gt_u32_e32 vcc_lo, 24, v13
	s_delay_alu instid0(VALU_DEP_2)
	v_add_lshl_u32 v9, v8, v13, 2
	ds_bpermute_b32 v8, v9, v6
	ds_bpermute_b32 v9, v9, v7
	s_wait_dscnt 0x0
	v_add_f64_e32 v[6:7], v[6:7], v[8:9]
	v_cndmask_b32_e64 v8, 0, 8, vcc_lo
	s_delay_alu instid0(VALU_DEP_1)
	v_add_lshl_u32 v9, v8, v13, 2
	ds_bpermute_b32 v8, v9, v6
	ds_bpermute_b32 v9, v9, v7
	s_wait_dscnt 0x0
	v_add_f64_e32 v[6:7], v[6:7], v[8:9]
	ds_bpermute_b32 v8, v15, v6
	ds_bpermute_b32 v9, v15, v7
	s_wait_dscnt 0x0
	v_add_f64_e32 v[6:7], v[6:7], v[8:9]
	s_and_saveexec_b32 s16, s3
; %bb.14:                               ;   in Loop: Header=BB36_8 Depth=1
	ds_store_b64 v11, v[6:7] offset:16384
; %bb.15:                               ;   in Loop: Header=BB36_8 Depth=1
	s_or_b32 exec_lo, exec_lo, s16
	s_mov_b32 s17, 0
	s_mov_b32 s16, 0
	s_wait_dscnt 0x0
	s_barrier_signal -1
	s_barrier_wait -1
                                        ; implicit-def: $vgpr8_vgpr9
	s_and_saveexec_b32 s20, s2
	s_delay_alu instid0(SALU_CYCLE_1)
	s_xor_b32 s20, exec_lo, s20
	s_cbranch_execz .LBB36_17
; %bb.16:                               ;   in Loop: Header=BB36_8 Depth=1
	ds_load_2addr_b64 v[18:21], v14 offset1:1
	ds_load_b64 v[8:9], v16 offset:16408
	s_mov_b32 s16, exec_lo
	s_wait_dscnt 0x1
	v_add_f64_e32 v[6:7], v[6:7], v[18:19]
	s_delay_alu instid0(VALU_DEP_1) | instskip(SKIP_1) | instid1(VALU_DEP_1)
	v_add_f64_e32 v[6:7], v[6:7], v[20:21]
	s_wait_dscnt 0x0
	v_add_f64_e32 v[8:9], v[6:7], v[8:9]
.LBB36_17:                              ;   in Loop: Header=BB36_8 Depth=1
	s_or_b32 exec_lo, exec_lo, s20
	s_delay_alu instid0(SALU_CYCLE_1)
	s_and_b32 vcc_lo, exec_lo, s17
	s_cbranch_vccnz .LBB36_20
.LBB36_18:                              ;   in Loop: Header=BB36_8 Depth=1
	s_delay_alu instid0(VALU_DEP_1)
	v_mov_b64_e32 v[4:5], v[8:9]
	s_and_saveexec_b32 s17, s16
	s_cbranch_execnz .LBB36_21
	s_branch .LBB36_22
.LBB36_19:                              ;   in Loop: Header=BB36_8 Depth=1
	s_mov_b32 s16, 0
                                        ; implicit-def: $vgpr8_vgpr9
	s_cbranch_execz .LBB36_18
.LBB36_20:                              ;   in Loop: Header=BB36_8 Depth=1
	s_and_not1_b32 s16, s16, exec_lo
	s_and_b32 s17, s2, exec_lo
	s_delay_alu instid0(SALU_CYCLE_1) | instskip(NEXT) | instid1(SALU_CYCLE_1)
	s_or_b32 s16, s16, s17
	s_and_saveexec_b32 s17, s16
.LBB36_21:                              ;   in Loop: Header=BB36_8 Depth=1
	ds_store_b64 v16, v[4:5] offset:16384
.LBB36_22:                              ;   in Loop: Header=BB36_8 Depth=1
	s_or_b32 exec_lo, exec_lo, s17
	s_wait_dscnt 0x0
	s_barrier_signal -1
	s_barrier_wait -1
	s_and_saveexec_b32 s16, s0
	s_cbranch_execz .LBB36_7
; %bb.23:                               ;   in Loop: Header=BB36_8 Depth=1
	global_load_b64 v[4:5], v16, s[12:13]
	ds_load_b64 v[6:7], v16 offset:16384
	v_mov_b64_e32 v[8:9], v[0:1]
	v_mov_b32_e32 v17, v10
	s_mov_b32 s17, 0
	s_wait_loadcnt_dscnt 0x0
	v_mul_f64_e64 v[4:5], v[6:7], -v[4:5]
	v_mov_b64_e32 v[6:7], v[2:3]
.LBB36_24:                              ;   Parent Loop BB36_8 Depth=1
                                        ; =>  This Inner Loop Header: Depth=2
	flat_load_b64 v[18:19], v[6:7]
	ds_load_b64 v[20:21], v17
	v_add_nc_u64_e32 v[8:9], 0x80, v[8:9]
	v_add_nc_u32_e32 v17, 0x400, v17
	s_delay_alu instid0(VALU_DEP_2)
	v_cmp_le_i64_e32 vcc_lo, s[6:7], v[8:9]
	s_or_b32 s17, vcc_lo, s17
	s_wait_loadcnt_dscnt 0x0
	v_fmac_f64_e32 v[18:19], v[4:5], v[20:21]
	flat_store_b64 v[6:7], v[18:19]
	s_wait_xcnt 0x0
	v_add_nc_u64_e32 v[6:7], s[14:15], v[6:7]
	s_and_not1_b32 exec_lo, exec_lo, s17
	s_cbranch_execnz .LBB36_24
	s_branch .LBB36_7
.LBB36_25:
	s_endpgm
	.section	.rodata,"a",@progbits
	.p2align	6, 0x0
	.amdhsa_kernel _ZN9rocsolver6v33100L23larf_right_kernel_smallILi128EdlPKPdEEvT1_S5_T2_lS5_lPKT0_lS6_lS5_l
		.amdhsa_group_segment_fixed_size 16416
		.amdhsa_private_segment_fixed_size 0
		.amdhsa_kernarg_size 96
		.amdhsa_user_sgpr_count 2
		.amdhsa_user_sgpr_dispatch_ptr 0
		.amdhsa_user_sgpr_queue_ptr 0
		.amdhsa_user_sgpr_kernarg_segment_ptr 1
		.amdhsa_user_sgpr_dispatch_id 0
		.amdhsa_user_sgpr_kernarg_preload_length 0
		.amdhsa_user_sgpr_kernarg_preload_offset 0
		.amdhsa_user_sgpr_private_segment_size 0
		.amdhsa_wavefront_size32 1
		.amdhsa_uses_dynamic_stack 0
		.amdhsa_enable_private_segment 0
		.amdhsa_system_sgpr_workgroup_id_x 1
		.amdhsa_system_sgpr_workgroup_id_y 1
		.amdhsa_system_sgpr_workgroup_id_z 0
		.amdhsa_system_sgpr_workgroup_info 0
		.amdhsa_system_vgpr_workitem_id 0
		.amdhsa_next_free_vgpr 22
		.amdhsa_next_free_sgpr 27
		.amdhsa_named_barrier_count 0
		.amdhsa_reserve_vcc 1
		.amdhsa_float_round_mode_32 0
		.amdhsa_float_round_mode_16_64 0
		.amdhsa_float_denorm_mode_32 3
		.amdhsa_float_denorm_mode_16_64 3
		.amdhsa_fp16_overflow 0
		.amdhsa_memory_ordered 1
		.amdhsa_forward_progress 1
		.amdhsa_inst_pref_size 10
		.amdhsa_round_robin_scheduling 0
		.amdhsa_exception_fp_ieee_invalid_op 0
		.amdhsa_exception_fp_denorm_src 0
		.amdhsa_exception_fp_ieee_div_zero 0
		.amdhsa_exception_fp_ieee_overflow 0
		.amdhsa_exception_fp_ieee_underflow 0
		.amdhsa_exception_fp_ieee_inexact 0
		.amdhsa_exception_int_div_zero 0
	.end_amdhsa_kernel
	.section	.text._ZN9rocsolver6v33100L23larf_right_kernel_smallILi128EdlPKPdEEvT1_S5_T2_lS5_lPKT0_lS6_lS5_l,"axG",@progbits,_ZN9rocsolver6v33100L23larf_right_kernel_smallILi128EdlPKPdEEvT1_S5_T2_lS5_lPKT0_lS6_lS5_l,comdat
.Lfunc_end36:
	.size	_ZN9rocsolver6v33100L23larf_right_kernel_smallILi128EdlPKPdEEvT1_S5_T2_lS5_lPKT0_lS6_lS5_l, .Lfunc_end36-_ZN9rocsolver6v33100L23larf_right_kernel_smallILi128EdlPKPdEEvT1_S5_T2_lS5_lPKT0_lS6_lS5_l
                                        ; -- End function
	.set _ZN9rocsolver6v33100L23larf_right_kernel_smallILi128EdlPKPdEEvT1_S5_T2_lS5_lPKT0_lS6_lS5_l.num_vgpr, 22
	.set _ZN9rocsolver6v33100L23larf_right_kernel_smallILi128EdlPKPdEEvT1_S5_T2_lS5_lPKT0_lS6_lS5_l.num_agpr, 0
	.set _ZN9rocsolver6v33100L23larf_right_kernel_smallILi128EdlPKPdEEvT1_S5_T2_lS5_lPKT0_lS6_lS5_l.numbered_sgpr, 27
	.set _ZN9rocsolver6v33100L23larf_right_kernel_smallILi128EdlPKPdEEvT1_S5_T2_lS5_lPKT0_lS6_lS5_l.num_named_barrier, 0
	.set _ZN9rocsolver6v33100L23larf_right_kernel_smallILi128EdlPKPdEEvT1_S5_T2_lS5_lPKT0_lS6_lS5_l.private_seg_size, 0
	.set _ZN9rocsolver6v33100L23larf_right_kernel_smallILi128EdlPKPdEEvT1_S5_T2_lS5_lPKT0_lS6_lS5_l.uses_vcc, 1
	.set _ZN9rocsolver6v33100L23larf_right_kernel_smallILi128EdlPKPdEEvT1_S5_T2_lS5_lPKT0_lS6_lS5_l.uses_flat_scratch, 0
	.set _ZN9rocsolver6v33100L23larf_right_kernel_smallILi128EdlPKPdEEvT1_S5_T2_lS5_lPKT0_lS6_lS5_l.has_dyn_sized_stack, 0
	.set _ZN9rocsolver6v33100L23larf_right_kernel_smallILi128EdlPKPdEEvT1_S5_T2_lS5_lPKT0_lS6_lS5_l.has_recursion, 0
	.set _ZN9rocsolver6v33100L23larf_right_kernel_smallILi128EdlPKPdEEvT1_S5_T2_lS5_lPKT0_lS6_lS5_l.has_indirect_call, 0
	.section	.AMDGPU.csdata,"",@progbits
; Kernel info:
; codeLenInByte = 1196
; TotalNumSgprs: 29
; NumVgprs: 22
; ScratchSize: 0
; MemoryBound: 0
; FloatMode: 240
; IeeeMode: 1
; LDSByteSize: 16416 bytes/workgroup (compile time only)
; SGPRBlocks: 0
; VGPRBlocks: 1
; NumSGPRsForWavesPerEU: 29
; NumVGPRsForWavesPerEU: 22
; NamedBarCnt: 0
; Occupancy: 16
; WaveLimiterHint : 1
; COMPUTE_PGM_RSRC2:SCRATCH_EN: 0
; COMPUTE_PGM_RSRC2:USER_SGPR: 2
; COMPUTE_PGM_RSRC2:TRAP_HANDLER: 0
; COMPUTE_PGM_RSRC2:TGID_X_EN: 1
; COMPUTE_PGM_RSRC2:TGID_Y_EN: 1
; COMPUTE_PGM_RSRC2:TGID_Z_EN: 0
; COMPUTE_PGM_RSRC2:TIDIG_COMP_CNT: 0
	.section	.text._ZN9rocsolver6v33100L23larf_right_kernel_smallILi256EdlPKPdEEvT1_S5_T2_lS5_lPKT0_lS6_lS5_l,"axG",@progbits,_ZN9rocsolver6v33100L23larf_right_kernel_smallILi256EdlPKPdEEvT1_S5_T2_lS5_lPKT0_lS6_lS5_l,comdat
	.globl	_ZN9rocsolver6v33100L23larf_right_kernel_smallILi256EdlPKPdEEvT1_S5_T2_lS5_lPKT0_lS6_lS5_l ; -- Begin function _ZN9rocsolver6v33100L23larf_right_kernel_smallILi256EdlPKPdEEvT1_S5_T2_lS5_lPKT0_lS6_lS5_l
	.p2align	8
	.type	_ZN9rocsolver6v33100L23larf_right_kernel_smallILi256EdlPKPdEEvT1_S5_T2_lS5_lPKT0_lS6_lS5_l,@function
_ZN9rocsolver6v33100L23larf_right_kernel_smallILi256EdlPKPdEEvT1_S5_T2_lS5_lPKT0_lS6_lS5_l: ; @_ZN9rocsolver6v33100L23larf_right_kernel_smallILi256EdlPKPdEEvT1_S5_T2_lS5_lPKT0_lS6_lS5_l
; %bb.0:
	s_clause 0x3
	s_load_b64 s[22:23], s[0:1], 0x20
	s_load_b256 s[4:11], s[0:1], 0x0
	s_load_b256 s[12:19], s[0:1], 0x30
	s_load_b64 s[20:21], s[0:1], 0x50
	s_wait_xcnt 0x0
	s_bfe_u32 s0, ttmp6, 0x4000c
	s_and_b32 s2, ttmp6, 15
	s_add_co_i32 s0, s0, 1
	s_getreg_b32 s1, hwreg(HW_REG_IB_STS2, 6, 4)
	s_mul_i32 s0, ttmp9, s0
	s_mov_b32 s3, 0
	s_add_co_i32 s2, s2, s0
	s_cmp_eq_u32 s1, 0
	s_cselect_b32 s2, ttmp9, s2
	s_wait_kmcnt 0x0
	v_cmp_gt_i64_e64 s24, s[22:23], 0
	s_and_b32 vcc_lo, exec_lo, s24
	s_mov_b64 s[24:25], 0
	s_cbranch_vccnz .LBB37_2
; %bb.1:
	s_sub_nc_u64 s[24:25], 1, s[6:7]
	s_delay_alu instid0(SALU_CYCLE_1)
	s_mul_u64 s[24:25], s[22:23], s[24:25]
.LBB37_2:
	s_load_b64 s[16:17], s[16:17], s2 offset:0x0 scale_offset
	v_dual_mov_b32 v1, 0 :: v_dual_lshlrev_b32 v10, 3, v0
	s_delay_alu instid0(VALU_DEP_1)
	v_cmp_gt_i64_e64 s0, s[6:7], v[0:1]
	s_and_saveexec_b32 s26, s0
	s_cbranch_execz .LBB37_5
; %bb.3:
	v_mul_u64_e32 v[2:3], s[22:23], v[0:1]
	s_load_b64 s[8:9], s[8:9], s2 offset:0x0 scale_offset
	s_lshl_b64 s[10:11], s[10:11], 3
	s_lshl_b64 s[24:25], s[24:25], 3
	v_mov_b64_e32 v[4:5], v[0:1]
	v_lshlrev_b32_e32 v6, 3, v0
	s_wait_kmcnt 0x0
	s_add_nc_u64 s[8:9], s[8:9], s[10:11]
	s_mov_b32 s10, 0
	s_add_nc_u64 s[8:9], s[8:9], s[24:25]
	s_delay_alu instid0(VALU_DEP_3) | instid1(SALU_CYCLE_1)
	v_lshl_add_u64 v[2:3], v[2:3], 3, s[8:9]
	s_lshl_b64 s[8:9], s[22:23], 11
.LBB37_4:                               ; =>This Inner Loop Header: Depth=1
	flat_load_b64 v[8:9], v[2:3]
	v_add_nc_u64_e32 v[4:5], 0x100, v[4:5]
	s_wait_xcnt 0x0
	v_add_nc_u64_e32 v[2:3], s[8:9], v[2:3]
	s_delay_alu instid0(VALU_DEP_2)
	v_cmp_le_i64_e32 vcc_lo, s[6:7], v[4:5]
	s_or_b32 s10, vcc_lo, s10
	s_wait_loadcnt_dscnt 0x0
	ds_store_b64 v6, v[8:9]
	v_add_nc_u32_e32 v6, 0x800, v6
	s_and_not1_b32 exec_lo, exec_lo, s10
	s_cbranch_execnz .LBB37_4
.LBB37_5:
	s_or_b32 exec_lo, exec_lo, s26
	s_bfe_u32 s8, ttmp6, 0x40010
	s_bfe_u32 s9, ttmp6, 0x40004
	s_add_co_i32 s8, s8, 1
	s_wait_dscnt 0x0
	s_mul_i32 s8, ttmp7, s8
	s_barrier_signal -1
	s_add_co_i32 s8, s9, s8
	s_cmp_eq_u32 s1, 0
	s_mov_b32 s9, 0
	s_cselect_b32 s8, ttmp7, s8
	s_barrier_wait -1
	v_cmp_le_i64_e64 s1, s[4:5], s[8:9]
	s_and_b32 vcc_lo, exec_lo, s1
	s_cbranch_vccnz .LBB37_25
; %bb.6:
	v_mul_u64_e32 v[2:3], s[20:21], v[0:1]
	s_mul_u64 s[10:11], s[14:15], s[2:3]
	s_lshl_b64 s[22:23], s[18:19], 3
	s_lshl_b64 s[14:15], s[10:11], 3
	s_cmp_gt_i32 s6, 1
	v_mul_lo_u32 v12, v0, s20
	s_cselect_b32 s18, -1, 0
	s_lshl_b64 s[24:25], s[8:9], 3
	v_dual_lshrrev_b32 v11, 2, v0 :: v_dual_bitop2_b32 v4, 31, v0 bitop3:0x40
	v_mbcnt_lo_u32_b32 v13, -1, 0
	s_wait_kmcnt 0x0
	s_add_nc_u64 s[10:11], s[16:17], s[22:23]
	s_add_nc_u64 s[16:17], s[16:17], s[24:25]
	v_cmp_gt_i32_e64 s1, s6, v0
	s_add_nc_u64 s[16:17], s[16:17], s[22:23]
	v_cmp_eq_u32_e64 s2, 0, v0
	v_mov_b32_e32 v14, 0x4008
	v_dual_mov_b32 v15, 0x4018 :: v_dual_mov_b32 v18, 0
	v_mov_b32_e32 v16, 0x4028
	v_cmp_eq_u32_e64 s3, 0, v4
	v_lshl_or_b32 v17, v13, 2, 64
	s_add_nc_u64 s[12:13], s[12:13], s[14:15]
	s_lshl_b32 s19, s20, 8
	s_lshl_b64 s[14:15], s[20:21], 11
	v_lshl_add_u64 v[2:3], v[2:3], 3, s[16:17]
	s_branch .LBB37_8
.LBB37_7:                               ;   in Loop: Header=BB37_8 Depth=1
	s_or_b32 exec_lo, exec_lo, s16
	s_add_nc_u64 s[8:9], s[8:9], 64
	v_add_nc_u64_e32 v[2:3], 0x200, v[2:3]
	v_cmp_ge_i64_e64 s16, s[8:9], s[4:5]
	s_and_b32 vcc_lo, exec_lo, s16
	s_cbranch_vccnz .LBB37_25
.LBB37_8:                               ; =>This Loop Header: Depth=1
                                        ;     Child Loop BB37_10 Depth 2
                                        ;     Child Loop BB37_24 Depth 2
	v_mov_b64_e32 v[4:5], 0
	s_and_saveexec_b32 s20, s1
	s_cbranch_execz .LBB37_12
; %bb.9:                                ;   in Loop: Header=BB37_8 Depth=1
	v_mov_b64_e32 v[4:5], 0
	v_dual_mov_b32 v6, v12 :: v_dual_mov_b32 v7, v10
	v_mov_b32_e32 v8, v0
	s_lshl_b64 s[16:17], s[8:9], 3
	s_mov_b32 s21, 0
	s_add_nc_u64 s[16:17], s[10:11], s[16:17]
.LBB37_10:                              ;   Parent Loop BB37_8 Depth=1
                                        ; =>  This Inner Loop Header: Depth=2
	flat_load_b64 v[20:21], v6, s[16:17] scale_offset
	ds_load_b64 v[22:23], v7
	v_add_nc_u32_e32 v8, 0x100, v8
	v_add_nc_u32_e32 v7, 0x800, v7
	s_wait_xcnt 0x0
	v_add_nc_u32_e32 v6, s19, v6
	s_delay_alu instid0(VALU_DEP_3)
	v_cmp_le_i32_e32 vcc_lo, s6, v8
	s_or_b32 s21, vcc_lo, s21
	s_wait_loadcnt_dscnt 0x0
	v_fmac_f64_e32 v[4:5], v[22:23], v[20:21]
	s_and_not1_b32 exec_lo, exec_lo, s21
	s_cbranch_execnz .LBB37_10
; %bb.11:                               ;   in Loop: Header=BB37_8 Depth=1
	s_or_b32 exec_lo, exec_lo, s21
.LBB37_12:                              ;   in Loop: Header=BB37_8 Depth=1
	s_delay_alu instid0(SALU_CYCLE_1) | instskip(NEXT) | instid1(SALU_CYCLE_1)
	s_or_b32 exec_lo, exec_lo, s20
	s_and_b32 vcc_lo, exec_lo, s18
	s_cbranch_vccz .LBB37_19
; %bb.13:                               ;   in Loop: Header=BB37_8 Depth=1
	v_cmp_ne_u32_e32 vcc_lo, 31, v13
	v_add_co_ci_u32_e64 v6, null, 0, v13, vcc_lo
	v_cmp_gt_u32_e32 vcc_lo, 30, v13
	s_delay_alu instid0(VALU_DEP_2)
	v_lshlrev_b32_e32 v7, 2, v6
	v_cndmask_b32_e64 v8, 0, 2, vcc_lo
	v_cmp_gt_u32_e32 vcc_lo, 28, v13
	ds_bpermute_b32 v6, v7, v4
	ds_bpermute_b32 v7, v7, v5
	v_add_lshl_u32 v9, v8, v13, 2
	s_wait_dscnt 0x0
	v_add_f64_e32 v[6:7], v[4:5], v[6:7]
	ds_bpermute_b32 v8, v9, v6
	ds_bpermute_b32 v9, v9, v7
	s_wait_dscnt 0x0
	v_add_f64_e32 v[6:7], v[6:7], v[8:9]
	v_cndmask_b32_e64 v8, 0, 4, vcc_lo
	v_cmp_gt_u32_e32 vcc_lo, 24, v13
	s_delay_alu instid0(VALU_DEP_2)
	v_add_lshl_u32 v9, v8, v13, 2
	ds_bpermute_b32 v8, v9, v6
	ds_bpermute_b32 v9, v9, v7
	s_wait_dscnt 0x0
	v_add_f64_e32 v[6:7], v[6:7], v[8:9]
	v_cndmask_b32_e64 v8, 0, 8, vcc_lo
	s_delay_alu instid0(VALU_DEP_1)
	v_add_lshl_u32 v9, v8, v13, 2
	ds_bpermute_b32 v8, v9, v6
	ds_bpermute_b32 v9, v9, v7
	s_wait_dscnt 0x0
	v_add_f64_e32 v[6:7], v[6:7], v[8:9]
	ds_bpermute_b32 v8, v17, v6
	ds_bpermute_b32 v9, v17, v7
	s_wait_dscnt 0x0
	v_add_f64_e32 v[6:7], v[6:7], v[8:9]
	s_and_saveexec_b32 s16, s3
; %bb.14:                               ;   in Loop: Header=BB37_8 Depth=1
	ds_store_b64 v11, v[6:7] offset:16384
; %bb.15:                               ;   in Loop: Header=BB37_8 Depth=1
	s_or_b32 exec_lo, exec_lo, s16
	s_mov_b32 s17, 0
	s_mov_b32 s16, 0
	s_wait_dscnt 0x0
	s_barrier_signal -1
	s_barrier_wait -1
                                        ; implicit-def: $vgpr8_vgpr9
	s_and_saveexec_b32 s20, s2
	s_delay_alu instid0(SALU_CYCLE_1)
	s_xor_b32 s20, exec_lo, s20
	s_cbranch_execz .LBB37_17
; %bb.16:                               ;   in Loop: Header=BB37_8 Depth=1
	ds_load_2addr_b64 v[20:23], v14 offset1:1
	ds_load_2addr_b64 v[24:27], v15 offset1:1
	s_mov_b32 s16, exec_lo
	s_wait_dscnt 0x1
	v_add_f64_e32 v[6:7], v[6:7], v[20:21]
	s_delay_alu instid0(VALU_DEP_1) | instskip(SKIP_1) | instid1(VALU_DEP_1)
	v_add_f64_e32 v[6:7], v[6:7], v[22:23]
	s_wait_dscnt 0x0
	v_add_f64_e32 v[6:7], v[6:7], v[24:25]
	s_delay_alu instid0(VALU_DEP_1) | instskip(SKIP_4) | instid1(VALU_DEP_1)
	v_add_f64_e32 v[20:21], v[6:7], v[26:27]
	ds_load_2addr_b64 v[6:9], v16 offset1:1
	ds_load_b64 v[22:23], v18 offset:16440
	s_wait_dscnt 0x1
	v_add_f64_e32 v[6:7], v[20:21], v[6:7]
	v_add_f64_e32 v[6:7], v[6:7], v[8:9]
	s_wait_dscnt 0x0
	s_delay_alu instid0(VALU_DEP_1)
	v_add_f64_e32 v[8:9], v[6:7], v[22:23]
.LBB37_17:                              ;   in Loop: Header=BB37_8 Depth=1
	s_or_b32 exec_lo, exec_lo, s20
	s_delay_alu instid0(SALU_CYCLE_1)
	s_and_b32 vcc_lo, exec_lo, s17
	s_cbranch_vccnz .LBB37_20
.LBB37_18:                              ;   in Loop: Header=BB37_8 Depth=1
	s_delay_alu instid0(VALU_DEP_1)
	v_mov_b64_e32 v[4:5], v[8:9]
	s_and_saveexec_b32 s17, s16
	s_cbranch_execnz .LBB37_21
	s_branch .LBB37_22
.LBB37_19:                              ;   in Loop: Header=BB37_8 Depth=1
	s_mov_b32 s16, 0
                                        ; implicit-def: $vgpr8_vgpr9
	s_cbranch_execz .LBB37_18
.LBB37_20:                              ;   in Loop: Header=BB37_8 Depth=1
	s_and_not1_b32 s16, s16, exec_lo
	s_and_b32 s17, s2, exec_lo
	s_delay_alu instid0(SALU_CYCLE_1) | instskip(NEXT) | instid1(SALU_CYCLE_1)
	s_or_b32 s16, s16, s17
	s_and_saveexec_b32 s17, s16
.LBB37_21:                              ;   in Loop: Header=BB37_8 Depth=1
	ds_store_b64 v18, v[4:5] offset:16384
.LBB37_22:                              ;   in Loop: Header=BB37_8 Depth=1
	s_or_b32 exec_lo, exec_lo, s17
	s_wait_dscnt 0x0
	s_barrier_signal -1
	s_barrier_wait -1
	s_and_saveexec_b32 s16, s0
	s_cbranch_execz .LBB37_7
; %bb.23:                               ;   in Loop: Header=BB37_8 Depth=1
	global_load_b64 v[4:5], v18, s[12:13]
	ds_load_b64 v[6:7], v18 offset:16384
	v_mov_b64_e32 v[8:9], v[0:1]
	v_mov_b32_e32 v19, v10
	s_mov_b32 s17, 0
	s_wait_loadcnt_dscnt 0x0
	v_mul_f64_e64 v[4:5], v[6:7], -v[4:5]
	v_mov_b64_e32 v[6:7], v[2:3]
.LBB37_24:                              ;   Parent Loop BB37_8 Depth=1
                                        ; =>  This Inner Loop Header: Depth=2
	flat_load_b64 v[20:21], v[6:7]
	ds_load_b64 v[22:23], v19
	v_add_nc_u64_e32 v[8:9], 0x100, v[8:9]
	v_add_nc_u32_e32 v19, 0x800, v19
	s_delay_alu instid0(VALU_DEP_2)
	v_cmp_le_i64_e32 vcc_lo, s[6:7], v[8:9]
	s_or_b32 s17, vcc_lo, s17
	s_wait_loadcnt_dscnt 0x0
	v_fmac_f64_e32 v[20:21], v[4:5], v[22:23]
	flat_store_b64 v[6:7], v[20:21]
	s_wait_xcnt 0x0
	v_add_nc_u64_e32 v[6:7], s[14:15], v[6:7]
	s_and_not1_b32 exec_lo, exec_lo, s17
	s_cbranch_execnz .LBB37_24
	s_branch .LBB37_7
.LBB37_25:
	s_endpgm
	.section	.rodata,"a",@progbits
	.p2align	6, 0x0
	.amdhsa_kernel _ZN9rocsolver6v33100L23larf_right_kernel_smallILi256EdlPKPdEEvT1_S5_T2_lS5_lPKT0_lS6_lS5_l
		.amdhsa_group_segment_fixed_size 16448
		.amdhsa_private_segment_fixed_size 0
		.amdhsa_kernarg_size 96
		.amdhsa_user_sgpr_count 2
		.amdhsa_user_sgpr_dispatch_ptr 0
		.amdhsa_user_sgpr_queue_ptr 0
		.amdhsa_user_sgpr_kernarg_segment_ptr 1
		.amdhsa_user_sgpr_dispatch_id 0
		.amdhsa_user_sgpr_kernarg_preload_length 0
		.amdhsa_user_sgpr_kernarg_preload_offset 0
		.amdhsa_user_sgpr_private_segment_size 0
		.amdhsa_wavefront_size32 1
		.amdhsa_uses_dynamic_stack 0
		.amdhsa_enable_private_segment 0
		.amdhsa_system_sgpr_workgroup_id_x 1
		.amdhsa_system_sgpr_workgroup_id_y 1
		.amdhsa_system_sgpr_workgroup_id_z 0
		.amdhsa_system_sgpr_workgroup_info 0
		.amdhsa_system_vgpr_workitem_id 0
		.amdhsa_next_free_vgpr 28
		.amdhsa_next_free_sgpr 27
		.amdhsa_named_barrier_count 0
		.amdhsa_reserve_vcc 1
		.amdhsa_float_round_mode_32 0
		.amdhsa_float_round_mode_16_64 0
		.amdhsa_float_denorm_mode_32 3
		.amdhsa_float_denorm_mode_16_64 3
		.amdhsa_fp16_overflow 0
		.amdhsa_memory_ordered 1
		.amdhsa_forward_progress 1
		.amdhsa_inst_pref_size 10
		.amdhsa_round_robin_scheduling 0
		.amdhsa_exception_fp_ieee_invalid_op 0
		.amdhsa_exception_fp_denorm_src 0
		.amdhsa_exception_fp_ieee_div_zero 0
		.amdhsa_exception_fp_ieee_overflow 0
		.amdhsa_exception_fp_ieee_underflow 0
		.amdhsa_exception_fp_ieee_inexact 0
		.amdhsa_exception_int_div_zero 0
	.end_amdhsa_kernel
	.section	.text._ZN9rocsolver6v33100L23larf_right_kernel_smallILi256EdlPKPdEEvT1_S5_T2_lS5_lPKT0_lS6_lS5_l,"axG",@progbits,_ZN9rocsolver6v33100L23larf_right_kernel_smallILi256EdlPKPdEEvT1_S5_T2_lS5_lPKT0_lS6_lS5_l,comdat
.Lfunc_end37:
	.size	_ZN9rocsolver6v33100L23larf_right_kernel_smallILi256EdlPKPdEEvT1_S5_T2_lS5_lPKT0_lS6_lS5_l, .Lfunc_end37-_ZN9rocsolver6v33100L23larf_right_kernel_smallILi256EdlPKPdEEvT1_S5_T2_lS5_lPKT0_lS6_lS5_l
                                        ; -- End function
	.set _ZN9rocsolver6v33100L23larf_right_kernel_smallILi256EdlPKPdEEvT1_S5_T2_lS5_lPKT0_lS6_lS5_l.num_vgpr, 28
	.set _ZN9rocsolver6v33100L23larf_right_kernel_smallILi256EdlPKPdEEvT1_S5_T2_lS5_lPKT0_lS6_lS5_l.num_agpr, 0
	.set _ZN9rocsolver6v33100L23larf_right_kernel_smallILi256EdlPKPdEEvT1_S5_T2_lS5_lPKT0_lS6_lS5_l.numbered_sgpr, 27
	.set _ZN9rocsolver6v33100L23larf_right_kernel_smallILi256EdlPKPdEEvT1_S5_T2_lS5_lPKT0_lS6_lS5_l.num_named_barrier, 0
	.set _ZN9rocsolver6v33100L23larf_right_kernel_smallILi256EdlPKPdEEvT1_S5_T2_lS5_lPKT0_lS6_lS5_l.private_seg_size, 0
	.set _ZN9rocsolver6v33100L23larf_right_kernel_smallILi256EdlPKPdEEvT1_S5_T2_lS5_lPKT0_lS6_lS5_l.uses_vcc, 1
	.set _ZN9rocsolver6v33100L23larf_right_kernel_smallILi256EdlPKPdEEvT1_S5_T2_lS5_lPKT0_lS6_lS5_l.uses_flat_scratch, 0
	.set _ZN9rocsolver6v33100L23larf_right_kernel_smallILi256EdlPKPdEEvT1_S5_T2_lS5_lPKT0_lS6_lS5_l.has_dyn_sized_stack, 0
	.set _ZN9rocsolver6v33100L23larf_right_kernel_smallILi256EdlPKPdEEvT1_S5_T2_lS5_lPKT0_lS6_lS5_l.has_recursion, 0
	.set _ZN9rocsolver6v33100L23larf_right_kernel_smallILi256EdlPKPdEEvT1_S5_T2_lS5_lPKT0_lS6_lS5_l.has_indirect_call, 0
	.section	.AMDGPU.csdata,"",@progbits
; Kernel info:
; codeLenInByte = 1260
; TotalNumSgprs: 29
; NumVgprs: 28
; ScratchSize: 0
; MemoryBound: 0
; FloatMode: 240
; IeeeMode: 1
; LDSByteSize: 16448 bytes/workgroup (compile time only)
; SGPRBlocks: 0
; VGPRBlocks: 1
; NumSGPRsForWavesPerEU: 29
; NumVGPRsForWavesPerEU: 28
; NamedBarCnt: 0
; Occupancy: 16
; WaveLimiterHint : 1
; COMPUTE_PGM_RSRC2:SCRATCH_EN: 0
; COMPUTE_PGM_RSRC2:USER_SGPR: 2
; COMPUTE_PGM_RSRC2:TRAP_HANDLER: 0
; COMPUTE_PGM_RSRC2:TGID_X_EN: 1
; COMPUTE_PGM_RSRC2:TGID_Y_EN: 1
; COMPUTE_PGM_RSRC2:TGID_Z_EN: 0
; COMPUTE_PGM_RSRC2:TIDIG_COMP_CNT: 0
	.section	.text._ZN9rocsolver6v33100L23larf_right_kernel_smallILi512EdlPKPdEEvT1_S5_T2_lS5_lPKT0_lS6_lS5_l,"axG",@progbits,_ZN9rocsolver6v33100L23larf_right_kernel_smallILi512EdlPKPdEEvT1_S5_T2_lS5_lPKT0_lS6_lS5_l,comdat
	.globl	_ZN9rocsolver6v33100L23larf_right_kernel_smallILi512EdlPKPdEEvT1_S5_T2_lS5_lPKT0_lS6_lS5_l ; -- Begin function _ZN9rocsolver6v33100L23larf_right_kernel_smallILi512EdlPKPdEEvT1_S5_T2_lS5_lPKT0_lS6_lS5_l
	.p2align	8
	.type	_ZN9rocsolver6v33100L23larf_right_kernel_smallILi512EdlPKPdEEvT1_S5_T2_lS5_lPKT0_lS6_lS5_l,@function
_ZN9rocsolver6v33100L23larf_right_kernel_smallILi512EdlPKPdEEvT1_S5_T2_lS5_lPKT0_lS6_lS5_l: ; @_ZN9rocsolver6v33100L23larf_right_kernel_smallILi512EdlPKPdEEvT1_S5_T2_lS5_lPKT0_lS6_lS5_l
; %bb.0:
	s_clause 0x3
	s_load_b64 s[22:23], s[0:1], 0x20
	s_load_b256 s[4:11], s[0:1], 0x0
	s_load_b256 s[12:19], s[0:1], 0x30
	s_load_b64 s[20:21], s[0:1], 0x50
	s_wait_xcnt 0x0
	s_bfe_u32 s0, ttmp6, 0x4000c
	s_and_b32 s2, ttmp6, 15
	s_add_co_i32 s0, s0, 1
	s_getreg_b32 s1, hwreg(HW_REG_IB_STS2, 6, 4)
	s_mul_i32 s0, ttmp9, s0
	s_mov_b32 s3, 0
	s_add_co_i32 s2, s2, s0
	s_cmp_eq_u32 s1, 0
	s_cselect_b32 s2, ttmp9, s2
	s_wait_kmcnt 0x0
	v_cmp_gt_i64_e64 s24, s[22:23], 0
	s_and_b32 vcc_lo, exec_lo, s24
	s_mov_b64 s[24:25], 0
	s_cbranch_vccnz .LBB38_2
; %bb.1:
	s_sub_nc_u64 s[24:25], 1, s[6:7]
	s_delay_alu instid0(SALU_CYCLE_1)
	s_mul_u64 s[24:25], s[22:23], s[24:25]
.LBB38_2:
	s_load_b64 s[16:17], s[16:17], s2 offset:0x0 scale_offset
	v_dual_mov_b32 v1, 0 :: v_dual_lshlrev_b32 v10, 3, v0
	s_delay_alu instid0(VALU_DEP_1)
	v_cmp_gt_i64_e64 s0, s[6:7], v[0:1]
	s_and_saveexec_b32 s26, s0
	s_cbranch_execz .LBB38_5
; %bb.3:
	v_mul_u64_e32 v[2:3], s[22:23], v[0:1]
	s_load_b64 s[8:9], s[8:9], s2 offset:0x0 scale_offset
	s_lshl_b64 s[10:11], s[10:11], 3
	s_lshl_b64 s[24:25], s[24:25], 3
	v_mov_b64_e32 v[4:5], v[0:1]
	v_lshlrev_b32_e32 v6, 3, v0
	s_wait_kmcnt 0x0
	s_add_nc_u64 s[8:9], s[8:9], s[10:11]
	s_mov_b32 s10, 0
	s_add_nc_u64 s[8:9], s[8:9], s[24:25]
	s_delay_alu instid0(VALU_DEP_3) | instid1(SALU_CYCLE_1)
	v_lshl_add_u64 v[2:3], v[2:3], 3, s[8:9]
	s_lshl_b64 s[8:9], s[22:23], 12
.LBB38_4:                               ; =>This Inner Loop Header: Depth=1
	flat_load_b64 v[8:9], v[2:3]
	v_add_nc_u64_e32 v[4:5], 0x200, v[4:5]
	s_wait_xcnt 0x0
	v_add_nc_u64_e32 v[2:3], s[8:9], v[2:3]
	s_delay_alu instid0(VALU_DEP_2)
	v_cmp_le_i64_e32 vcc_lo, s[6:7], v[4:5]
	s_or_b32 s10, vcc_lo, s10
	s_wait_loadcnt_dscnt 0x0
	ds_store_b64 v6, v[8:9]
	v_add_nc_u32_e32 v6, 0x1000, v6
	s_and_not1_b32 exec_lo, exec_lo, s10
	s_cbranch_execnz .LBB38_4
.LBB38_5:
	s_or_b32 exec_lo, exec_lo, s26
	s_bfe_u32 s8, ttmp6, 0x40010
	s_bfe_u32 s9, ttmp6, 0x40004
	s_add_co_i32 s8, s8, 1
	s_wait_dscnt 0x0
	s_mul_i32 s8, ttmp7, s8
	s_barrier_signal -1
	s_add_co_i32 s8, s9, s8
	s_cmp_eq_u32 s1, 0
	s_mov_b32 s9, 0
	s_cselect_b32 s8, ttmp7, s8
	s_barrier_wait -1
	v_cmp_le_i64_e64 s1, s[4:5], s[8:9]
	s_and_b32 vcc_lo, exec_lo, s1
	s_cbranch_vccnz .LBB38_25
; %bb.6:
	v_mul_u64_e32 v[2:3], s[20:21], v[0:1]
	s_mul_u64 s[10:11], s[14:15], s[2:3]
	s_lshl_b64 s[22:23], s[18:19], 3
	s_lshl_b64 s[14:15], s[10:11], 3
	s_cmp_gt_i32 s6, 1
	v_mul_lo_u32 v12, v0, s20
	s_cselect_b32 s18, -1, 0
	s_lshl_b64 s[24:25], s[8:9], 3
	v_dual_lshrrev_b32 v11, 2, v0 :: v_dual_bitop2_b32 v4, 31, v0 bitop3:0x40
	v_mbcnt_lo_u32_b32 v13, -1, 0
	s_wait_kmcnt 0x0
	s_add_nc_u64 s[10:11], s[16:17], s[22:23]
	s_add_nc_u64 s[16:17], s[16:17], s[24:25]
	v_cmp_gt_i32_e64 s1, s6, v0
	s_add_nc_u64 s[16:17], s[16:17], s[22:23]
	v_cmp_eq_u32_e64 s2, 0, v0
	v_mov_b32_e32 v14, 0x4008
	v_dual_mov_b32 v15, 0x4018 :: v_dual_mov_b32 v22, 0
	v_mov_b32_e32 v16, 0x4028
	v_mov_b32_e32 v17, 0x4038
	;; [unrolled: 1-line block ×5, first 2 shown]
	v_cmp_eq_u32_e64 s3, 0, v4
	v_lshl_or_b32 v21, v13, 2, 64
	s_add_nc_u64 s[12:13], s[12:13], s[14:15]
	s_lshl_b32 s19, s20, 9
	s_lshl_b64 s[14:15], s[20:21], 12
	v_lshl_add_u64 v[2:3], v[2:3], 3, s[16:17]
	s_branch .LBB38_8
.LBB38_7:                               ;   in Loop: Header=BB38_8 Depth=1
	s_or_b32 exec_lo, exec_lo, s16
	s_add_nc_u64 s[8:9], s[8:9], 64
	v_add_nc_u64_e32 v[2:3], 0x200, v[2:3]
	v_cmp_ge_i64_e64 s16, s[8:9], s[4:5]
	s_and_b32 vcc_lo, exec_lo, s16
	s_cbranch_vccnz .LBB38_25
.LBB38_8:                               ; =>This Loop Header: Depth=1
                                        ;     Child Loop BB38_10 Depth 2
                                        ;     Child Loop BB38_24 Depth 2
	v_mov_b64_e32 v[4:5], 0
	s_and_saveexec_b32 s20, s1
	s_cbranch_execz .LBB38_12
; %bb.9:                                ;   in Loop: Header=BB38_8 Depth=1
	v_mov_b64_e32 v[4:5], 0
	v_dual_mov_b32 v6, v12 :: v_dual_mov_b32 v7, v10
	v_mov_b32_e32 v8, v0
	s_lshl_b64 s[16:17], s[8:9], 3
	s_mov_b32 s21, 0
	s_add_nc_u64 s[16:17], s[10:11], s[16:17]
.LBB38_10:                              ;   Parent Loop BB38_8 Depth=1
                                        ; =>  This Inner Loop Header: Depth=2
	flat_load_b64 v[24:25], v6, s[16:17] scale_offset
	ds_load_b64 v[26:27], v7
	v_add_nc_u32_e32 v8, 0x200, v8
	v_add_nc_u32_e32 v7, 0x1000, v7
	s_wait_xcnt 0x0
	v_add_nc_u32_e32 v6, s19, v6
	s_delay_alu instid0(VALU_DEP_3)
	v_cmp_le_i32_e32 vcc_lo, s6, v8
	s_or_b32 s21, vcc_lo, s21
	s_wait_loadcnt_dscnt 0x0
	v_fmac_f64_e32 v[4:5], v[26:27], v[24:25]
	s_and_not1_b32 exec_lo, exec_lo, s21
	s_cbranch_execnz .LBB38_10
; %bb.11:                               ;   in Loop: Header=BB38_8 Depth=1
	s_or_b32 exec_lo, exec_lo, s21
.LBB38_12:                              ;   in Loop: Header=BB38_8 Depth=1
	s_delay_alu instid0(SALU_CYCLE_1) | instskip(NEXT) | instid1(SALU_CYCLE_1)
	s_or_b32 exec_lo, exec_lo, s20
	s_and_b32 vcc_lo, exec_lo, s18
	s_cbranch_vccz .LBB38_19
; %bb.13:                               ;   in Loop: Header=BB38_8 Depth=1
	v_cmp_ne_u32_e32 vcc_lo, 31, v13
	v_add_co_ci_u32_e64 v6, null, 0, v13, vcc_lo
	v_cmp_gt_u32_e32 vcc_lo, 30, v13
	s_delay_alu instid0(VALU_DEP_2)
	v_lshlrev_b32_e32 v7, 2, v6
	v_cndmask_b32_e64 v8, 0, 2, vcc_lo
	v_cmp_gt_u32_e32 vcc_lo, 28, v13
	ds_bpermute_b32 v6, v7, v4
	ds_bpermute_b32 v7, v7, v5
	v_add_lshl_u32 v9, v8, v13, 2
	s_wait_dscnt 0x0
	v_add_f64_e32 v[6:7], v[4:5], v[6:7]
	ds_bpermute_b32 v8, v9, v6
	ds_bpermute_b32 v9, v9, v7
	s_wait_dscnt 0x0
	v_add_f64_e32 v[6:7], v[6:7], v[8:9]
	v_cndmask_b32_e64 v8, 0, 4, vcc_lo
	v_cmp_gt_u32_e32 vcc_lo, 24, v13
	s_delay_alu instid0(VALU_DEP_2)
	v_add_lshl_u32 v9, v8, v13, 2
	ds_bpermute_b32 v8, v9, v6
	ds_bpermute_b32 v9, v9, v7
	s_wait_dscnt 0x0
	v_add_f64_e32 v[6:7], v[6:7], v[8:9]
	v_cndmask_b32_e64 v8, 0, 8, vcc_lo
	s_delay_alu instid0(VALU_DEP_1)
	v_add_lshl_u32 v9, v8, v13, 2
	ds_bpermute_b32 v8, v9, v6
	ds_bpermute_b32 v9, v9, v7
	s_wait_dscnt 0x0
	v_add_f64_e32 v[6:7], v[6:7], v[8:9]
	ds_bpermute_b32 v8, v21, v6
	ds_bpermute_b32 v9, v21, v7
	s_wait_dscnt 0x0
	v_add_f64_e32 v[6:7], v[6:7], v[8:9]
	s_and_saveexec_b32 s16, s3
; %bb.14:                               ;   in Loop: Header=BB38_8 Depth=1
	ds_store_b64 v11, v[6:7] offset:16384
; %bb.15:                               ;   in Loop: Header=BB38_8 Depth=1
	s_or_b32 exec_lo, exec_lo, s16
	s_mov_b32 s17, 0
	s_mov_b32 s16, 0
	s_wait_dscnt 0x0
	s_barrier_signal -1
	s_barrier_wait -1
                                        ; implicit-def: $vgpr8_vgpr9
	s_and_saveexec_b32 s20, s2
	s_delay_alu instid0(SALU_CYCLE_1)
	s_xor_b32 s20, exec_lo, s20
	s_cbranch_execz .LBB38_17
; %bb.16:                               ;   in Loop: Header=BB38_8 Depth=1
	ds_load_2addr_b64 v[24:27], v14 offset1:1
	ds_load_2addr_b64 v[28:31], v15 offset1:1
	s_mov_b32 s16, exec_lo
	s_wait_dscnt 0x1
	v_add_f64_e32 v[6:7], v[6:7], v[24:25]
	s_delay_alu instid0(VALU_DEP_1) | instskip(SKIP_1) | instid1(VALU_DEP_1)
	v_add_f64_e32 v[6:7], v[6:7], v[26:27]
	s_wait_dscnt 0x0
	v_add_f64_e32 v[6:7], v[6:7], v[28:29]
	s_delay_alu instid0(VALU_DEP_1) | instskip(SKIP_4) | instid1(VALU_DEP_1)
	v_add_f64_e32 v[28:29], v[6:7], v[30:31]
	ds_load_2addr_b64 v[6:9], v16 offset1:1
	ds_load_2addr_b64 v[24:27], v17 offset1:1
	s_wait_dscnt 0x1
	v_add_f64_e32 v[6:7], v[28:29], v[6:7]
	v_add_f64_e32 v[6:7], v[6:7], v[8:9]
	s_wait_dscnt 0x0
	s_delay_alu instid0(VALU_DEP_1) | instskip(NEXT) | instid1(VALU_DEP_1)
	v_add_f64_e32 v[6:7], v[6:7], v[24:25]
	v_add_f64_e32 v[28:29], v[6:7], v[26:27]
	ds_load_2addr_b64 v[6:9], v18 offset1:1
	ds_load_2addr_b64 v[24:27], v19 offset1:1
	s_wait_dscnt 0x1
	v_add_f64_e32 v[6:7], v[28:29], v[6:7]
	s_delay_alu instid0(VALU_DEP_1) | instskip(SKIP_1) | instid1(VALU_DEP_1)
	v_add_f64_e32 v[6:7], v[6:7], v[8:9]
	s_wait_dscnt 0x0
	v_add_f64_e32 v[6:7], v[6:7], v[24:25]
	s_delay_alu instid0(VALU_DEP_1) | instskip(SKIP_4) | instid1(VALU_DEP_1)
	v_add_f64_e32 v[24:25], v[6:7], v[26:27]
	ds_load_2addr_b64 v[6:9], v20 offset1:1
	ds_load_b64 v[26:27], v22 offset:16504
	s_wait_dscnt 0x1
	v_add_f64_e32 v[6:7], v[24:25], v[6:7]
	v_add_f64_e32 v[6:7], v[6:7], v[8:9]
	s_wait_dscnt 0x0
	s_delay_alu instid0(VALU_DEP_1)
	v_add_f64_e32 v[8:9], v[6:7], v[26:27]
.LBB38_17:                              ;   in Loop: Header=BB38_8 Depth=1
	s_or_b32 exec_lo, exec_lo, s20
	s_delay_alu instid0(SALU_CYCLE_1)
	s_and_b32 vcc_lo, exec_lo, s17
	s_cbranch_vccnz .LBB38_20
.LBB38_18:                              ;   in Loop: Header=BB38_8 Depth=1
	s_delay_alu instid0(VALU_DEP_1)
	v_mov_b64_e32 v[4:5], v[8:9]
	s_and_saveexec_b32 s17, s16
	s_cbranch_execnz .LBB38_21
	s_branch .LBB38_22
.LBB38_19:                              ;   in Loop: Header=BB38_8 Depth=1
	s_mov_b32 s16, 0
                                        ; implicit-def: $vgpr8_vgpr9
	s_cbranch_execz .LBB38_18
.LBB38_20:                              ;   in Loop: Header=BB38_8 Depth=1
	s_and_not1_b32 s16, s16, exec_lo
	s_and_b32 s17, s2, exec_lo
	s_delay_alu instid0(SALU_CYCLE_1) | instskip(NEXT) | instid1(SALU_CYCLE_1)
	s_or_b32 s16, s16, s17
	s_and_saveexec_b32 s17, s16
.LBB38_21:                              ;   in Loop: Header=BB38_8 Depth=1
	ds_store_b64 v22, v[4:5] offset:16384
.LBB38_22:                              ;   in Loop: Header=BB38_8 Depth=1
	s_or_b32 exec_lo, exec_lo, s17
	s_wait_dscnt 0x0
	s_barrier_signal -1
	s_barrier_wait -1
	s_and_saveexec_b32 s16, s0
	s_cbranch_execz .LBB38_7
; %bb.23:                               ;   in Loop: Header=BB38_8 Depth=1
	global_load_b64 v[4:5], v22, s[12:13]
	ds_load_b64 v[6:7], v22 offset:16384
	v_mov_b64_e32 v[8:9], v[0:1]
	v_mov_b32_e32 v23, v10
	s_mov_b32 s17, 0
	s_wait_loadcnt_dscnt 0x0
	v_mul_f64_e64 v[4:5], v[6:7], -v[4:5]
	v_mov_b64_e32 v[6:7], v[2:3]
.LBB38_24:                              ;   Parent Loop BB38_8 Depth=1
                                        ; =>  This Inner Loop Header: Depth=2
	flat_load_b64 v[24:25], v[6:7]
	ds_load_b64 v[26:27], v23
	v_add_nc_u64_e32 v[8:9], 0x200, v[8:9]
	v_add_nc_u32_e32 v23, 0x1000, v23
	s_delay_alu instid0(VALU_DEP_2)
	v_cmp_le_i64_e32 vcc_lo, s[6:7], v[8:9]
	s_or_b32 s17, vcc_lo, s17
	s_wait_loadcnt_dscnt 0x0
	v_fmac_f64_e32 v[24:25], v[4:5], v[26:27]
	flat_store_b64 v[6:7], v[24:25]
	s_wait_xcnt 0x0
	v_add_nc_u64_e32 v[6:7], s[14:15], v[6:7]
	s_and_not1_b32 exec_lo, exec_lo, s17
	s_cbranch_execnz .LBB38_24
	s_branch .LBB38_7
.LBB38_25:
	s_endpgm
	.section	.rodata,"a",@progbits
	.p2align	6, 0x0
	.amdhsa_kernel _ZN9rocsolver6v33100L23larf_right_kernel_smallILi512EdlPKPdEEvT1_S5_T2_lS5_lPKT0_lS6_lS5_l
		.amdhsa_group_segment_fixed_size 16512
		.amdhsa_private_segment_fixed_size 0
		.amdhsa_kernarg_size 96
		.amdhsa_user_sgpr_count 2
		.amdhsa_user_sgpr_dispatch_ptr 0
		.amdhsa_user_sgpr_queue_ptr 0
		.amdhsa_user_sgpr_kernarg_segment_ptr 1
		.amdhsa_user_sgpr_dispatch_id 0
		.amdhsa_user_sgpr_kernarg_preload_length 0
		.amdhsa_user_sgpr_kernarg_preload_offset 0
		.amdhsa_user_sgpr_private_segment_size 0
		.amdhsa_wavefront_size32 1
		.amdhsa_uses_dynamic_stack 0
		.amdhsa_enable_private_segment 0
		.amdhsa_system_sgpr_workgroup_id_x 1
		.amdhsa_system_sgpr_workgroup_id_y 1
		.amdhsa_system_sgpr_workgroup_id_z 0
		.amdhsa_system_sgpr_workgroup_info 0
		.amdhsa_system_vgpr_workitem_id 0
		.amdhsa_next_free_vgpr 32
		.amdhsa_next_free_sgpr 27
		.amdhsa_named_barrier_count 0
		.amdhsa_reserve_vcc 1
		.amdhsa_float_round_mode_32 0
		.amdhsa_float_round_mode_16_64 0
		.amdhsa_float_denorm_mode_32 3
		.amdhsa_float_denorm_mode_16_64 3
		.amdhsa_fp16_overflow 0
		.amdhsa_memory_ordered 1
		.amdhsa_forward_progress 1
		.amdhsa_inst_pref_size 11
		.amdhsa_round_robin_scheduling 0
		.amdhsa_exception_fp_ieee_invalid_op 0
		.amdhsa_exception_fp_denorm_src 0
		.amdhsa_exception_fp_ieee_div_zero 0
		.amdhsa_exception_fp_ieee_overflow 0
		.amdhsa_exception_fp_ieee_underflow 0
		.amdhsa_exception_fp_ieee_inexact 0
		.amdhsa_exception_int_div_zero 0
	.end_amdhsa_kernel
	.section	.text._ZN9rocsolver6v33100L23larf_right_kernel_smallILi512EdlPKPdEEvT1_S5_T2_lS5_lPKT0_lS6_lS5_l,"axG",@progbits,_ZN9rocsolver6v33100L23larf_right_kernel_smallILi512EdlPKPdEEvT1_S5_T2_lS5_lPKT0_lS6_lS5_l,comdat
.Lfunc_end38:
	.size	_ZN9rocsolver6v33100L23larf_right_kernel_smallILi512EdlPKPdEEvT1_S5_T2_lS5_lPKT0_lS6_lS5_l, .Lfunc_end38-_ZN9rocsolver6v33100L23larf_right_kernel_smallILi512EdlPKPdEEvT1_S5_T2_lS5_lPKT0_lS6_lS5_l
                                        ; -- End function
	.set _ZN9rocsolver6v33100L23larf_right_kernel_smallILi512EdlPKPdEEvT1_S5_T2_lS5_lPKT0_lS6_lS5_l.num_vgpr, 32
	.set _ZN9rocsolver6v33100L23larf_right_kernel_smallILi512EdlPKPdEEvT1_S5_T2_lS5_lPKT0_lS6_lS5_l.num_agpr, 0
	.set _ZN9rocsolver6v33100L23larf_right_kernel_smallILi512EdlPKPdEEvT1_S5_T2_lS5_lPKT0_lS6_lS5_l.numbered_sgpr, 27
	.set _ZN9rocsolver6v33100L23larf_right_kernel_smallILi512EdlPKPdEEvT1_S5_T2_lS5_lPKT0_lS6_lS5_l.num_named_barrier, 0
	.set _ZN9rocsolver6v33100L23larf_right_kernel_smallILi512EdlPKPdEEvT1_S5_T2_lS5_lPKT0_lS6_lS5_l.private_seg_size, 0
	.set _ZN9rocsolver6v33100L23larf_right_kernel_smallILi512EdlPKPdEEvT1_S5_T2_lS5_lPKT0_lS6_lS5_l.uses_vcc, 1
	.set _ZN9rocsolver6v33100L23larf_right_kernel_smallILi512EdlPKPdEEvT1_S5_T2_lS5_lPKT0_lS6_lS5_l.uses_flat_scratch, 0
	.set _ZN9rocsolver6v33100L23larf_right_kernel_smallILi512EdlPKPdEEvT1_S5_T2_lS5_lPKT0_lS6_lS5_l.has_dyn_sized_stack, 0
	.set _ZN9rocsolver6v33100L23larf_right_kernel_smallILi512EdlPKPdEEvT1_S5_T2_lS5_lPKT0_lS6_lS5_l.has_recursion, 0
	.set _ZN9rocsolver6v33100L23larf_right_kernel_smallILi512EdlPKPdEEvT1_S5_T2_lS5_lPKT0_lS6_lS5_l.has_indirect_call, 0
	.section	.AMDGPU.csdata,"",@progbits
; Kernel info:
; codeLenInByte = 1384
; TotalNumSgprs: 29
; NumVgprs: 32
; ScratchSize: 0
; MemoryBound: 0
; FloatMode: 240
; IeeeMode: 1
; LDSByteSize: 16512 bytes/workgroup (compile time only)
; SGPRBlocks: 0
; VGPRBlocks: 1
; NumSGPRsForWavesPerEU: 29
; NumVGPRsForWavesPerEU: 32
; NamedBarCnt: 0
; Occupancy: 16
; WaveLimiterHint : 1
; COMPUTE_PGM_RSRC2:SCRATCH_EN: 0
; COMPUTE_PGM_RSRC2:USER_SGPR: 2
; COMPUTE_PGM_RSRC2:TRAP_HANDLER: 0
; COMPUTE_PGM_RSRC2:TGID_X_EN: 1
; COMPUTE_PGM_RSRC2:TGID_Y_EN: 1
; COMPUTE_PGM_RSRC2:TGID_Z_EN: 0
; COMPUTE_PGM_RSRC2:TIDIG_COMP_CNT: 0
	.section	.text._ZN9rocsolver6v33100L23larf_right_kernel_smallILi1024EdlPKPdEEvT1_S5_T2_lS5_lPKT0_lS6_lS5_l,"axG",@progbits,_ZN9rocsolver6v33100L23larf_right_kernel_smallILi1024EdlPKPdEEvT1_S5_T2_lS5_lPKT0_lS6_lS5_l,comdat
	.globl	_ZN9rocsolver6v33100L23larf_right_kernel_smallILi1024EdlPKPdEEvT1_S5_T2_lS5_lPKT0_lS6_lS5_l ; -- Begin function _ZN9rocsolver6v33100L23larf_right_kernel_smallILi1024EdlPKPdEEvT1_S5_T2_lS5_lPKT0_lS6_lS5_l
	.p2align	8
	.type	_ZN9rocsolver6v33100L23larf_right_kernel_smallILi1024EdlPKPdEEvT1_S5_T2_lS5_lPKT0_lS6_lS5_l,@function
_ZN9rocsolver6v33100L23larf_right_kernel_smallILi1024EdlPKPdEEvT1_S5_T2_lS5_lPKT0_lS6_lS5_l: ; @_ZN9rocsolver6v33100L23larf_right_kernel_smallILi1024EdlPKPdEEvT1_S5_T2_lS5_lPKT0_lS6_lS5_l
; %bb.0:
	s_clause 0x3
	s_load_b64 s[22:23], s[0:1], 0x20
	s_load_b256 s[4:11], s[0:1], 0x0
	s_load_b256 s[12:19], s[0:1], 0x30
	s_load_b64 s[20:21], s[0:1], 0x50
	s_wait_xcnt 0x0
	s_bfe_u32 s0, ttmp6, 0x4000c
	s_and_b32 s2, ttmp6, 15
	s_add_co_i32 s0, s0, 1
	s_getreg_b32 s1, hwreg(HW_REG_IB_STS2, 6, 4)
	s_mul_i32 s0, ttmp9, s0
	s_mov_b32 s3, 0
	s_add_co_i32 s2, s2, s0
	s_cmp_eq_u32 s1, 0
	s_cselect_b32 s2, ttmp9, s2
	s_wait_kmcnt 0x0
	v_cmp_gt_i64_e64 s24, s[22:23], 0
	s_and_b32 vcc_lo, exec_lo, s24
	s_mov_b64 s[24:25], 0
	s_cbranch_vccnz .LBB39_2
; %bb.1:
	s_sub_nc_u64 s[24:25], 1, s[6:7]
	s_delay_alu instid0(SALU_CYCLE_1)
	s_mul_u64 s[24:25], s[22:23], s[24:25]
.LBB39_2:
	s_load_b64 s[16:17], s[16:17], s2 offset:0x0 scale_offset
	v_dual_mov_b32 v1, 0 :: v_dual_lshlrev_b32 v10, 3, v0
	s_delay_alu instid0(VALU_DEP_1)
	v_cmp_gt_i64_e64 s0, s[6:7], v[0:1]
	s_and_saveexec_b32 s26, s0
	s_cbranch_execz .LBB39_5
; %bb.3:
	v_mul_u64_e32 v[2:3], s[22:23], v[0:1]
	s_load_b64 s[8:9], s[8:9], s2 offset:0x0 scale_offset
	s_lshl_b64 s[10:11], s[10:11], 3
	s_lshl_b64 s[24:25], s[24:25], 3
	v_mov_b64_e32 v[4:5], v[0:1]
	v_lshlrev_b32_e32 v6, 3, v0
	s_wait_kmcnt 0x0
	s_add_nc_u64 s[8:9], s[8:9], s[10:11]
	s_mov_b32 s10, 0
	s_add_nc_u64 s[8:9], s[8:9], s[24:25]
	s_delay_alu instid0(VALU_DEP_3) | instid1(SALU_CYCLE_1)
	v_lshl_add_u64 v[2:3], v[2:3], 3, s[8:9]
	s_lshl_b64 s[8:9], s[22:23], 13
.LBB39_4:                               ; =>This Inner Loop Header: Depth=1
	flat_load_b64 v[8:9], v[2:3]
	v_add_nc_u64_e32 v[4:5], 0x400, v[4:5]
	s_wait_xcnt 0x0
	v_add_nc_u64_e32 v[2:3], s[8:9], v[2:3]
	s_delay_alu instid0(VALU_DEP_2)
	v_cmp_le_i64_e32 vcc_lo, s[6:7], v[4:5]
	s_or_b32 s10, vcc_lo, s10
	s_wait_loadcnt_dscnt 0x0
	ds_store_b64 v6, v[8:9]
	v_add_nc_u32_e32 v6, 0x2000, v6
	s_and_not1_b32 exec_lo, exec_lo, s10
	s_cbranch_execnz .LBB39_4
.LBB39_5:
	s_or_b32 exec_lo, exec_lo, s26
	s_bfe_u32 s8, ttmp6, 0x40010
	s_bfe_u32 s9, ttmp6, 0x40004
	s_add_co_i32 s8, s8, 1
	s_wait_dscnt 0x0
	s_mul_i32 s8, ttmp7, s8
	s_barrier_signal -1
	s_add_co_i32 s8, s9, s8
	s_cmp_eq_u32 s1, 0
	s_mov_b32 s9, 0
	s_cselect_b32 s8, ttmp7, s8
	s_barrier_wait -1
	v_cmp_le_i64_e64 s1, s[4:5], s[8:9]
	s_and_b32 vcc_lo, exec_lo, s1
	s_cbranch_vccnz .LBB39_25
; %bb.6:
	v_mul_u64_e32 v[2:3], s[20:21], v[0:1]
	s_mul_u64 s[10:11], s[14:15], s[2:3]
	s_lshl_b64 s[22:23], s[18:19], 3
	s_lshl_b64 s[14:15], s[10:11], 3
	s_cmp_gt_i32 s6, 1
	v_mul_lo_u32 v12, v0, s20
	s_cselect_b32 s18, -1, 0
	s_lshl_b64 s[24:25], s[8:9], 3
	v_dual_lshrrev_b32 v11, 2, v0 :: v_dual_bitop2_b32 v4, 31, v0 bitop3:0x40
	v_mbcnt_lo_u32_b32 v13, -1, 0
	s_wait_kmcnt 0x0
	s_add_nc_u64 s[10:11], s[16:17], s[22:23]
	s_add_nc_u64 s[16:17], s[16:17], s[24:25]
	v_cmp_gt_i32_e64 s1, s6, v0
	s_add_nc_u64 s[16:17], s[16:17], s[22:23]
	v_cmp_eq_u32_e64 s2, 0, v0
	v_mov_b32_e32 v14, 0x4008
	v_dual_mov_b32 v15, 0x4018 :: v_dual_mov_b32 v30, 0
	v_mov_b32_e32 v16, 0x4028
	v_mov_b32_e32 v17, 0x4038
	;; [unrolled: 1-line block ×12, first 2 shown]
	v_cmp_eq_u32_e64 s3, 0, v4
	v_lshl_or_b32 v28, v13, 2, 64
	v_lshl_add_u64 v[2:3], v[2:3], 3, s[16:17]
	v_mov_b32_e32 v29, 0x40e8
	s_add_nc_u64 s[12:13], s[12:13], s[14:15]
	s_lshl_b32 s19, s20, 10
	s_lshl_b64 s[14:15], s[20:21], 13
	s_branch .LBB39_8
.LBB39_7:                               ;   in Loop: Header=BB39_8 Depth=1
	s_or_b32 exec_lo, exec_lo, s16
	s_add_nc_u64 s[8:9], s[8:9], 64
	v_add_nc_u64_e32 v[2:3], 0x200, v[2:3]
	v_cmp_ge_i64_e64 s16, s[8:9], s[4:5]
	s_and_b32 vcc_lo, exec_lo, s16
	s_cbranch_vccnz .LBB39_25
.LBB39_8:                               ; =>This Loop Header: Depth=1
                                        ;     Child Loop BB39_10 Depth 2
                                        ;     Child Loop BB39_24 Depth 2
	v_mov_b64_e32 v[4:5], 0
	s_and_saveexec_b32 s20, s1
	s_cbranch_execz .LBB39_12
; %bb.9:                                ;   in Loop: Header=BB39_8 Depth=1
	v_mov_b64_e32 v[4:5], 0
	v_dual_mov_b32 v6, v12 :: v_dual_mov_b32 v7, v10
	v_mov_b32_e32 v8, v0
	s_lshl_b64 s[16:17], s[8:9], 3
	s_mov_b32 s21, 0
	s_add_nc_u64 s[16:17], s[10:11], s[16:17]
.LBB39_10:                              ;   Parent Loop BB39_8 Depth=1
                                        ; =>  This Inner Loop Header: Depth=2
	flat_load_b64 v[32:33], v6, s[16:17] scale_offset
	ds_load_b64 v[34:35], v7
	v_add_nc_u32_e32 v8, 0x400, v8
	v_add_nc_u32_e32 v7, 0x2000, v7
	s_wait_xcnt 0x0
	v_add_nc_u32_e32 v6, s19, v6
	s_delay_alu instid0(VALU_DEP_3)
	v_cmp_le_i32_e32 vcc_lo, s6, v8
	s_or_b32 s21, vcc_lo, s21
	s_wait_loadcnt_dscnt 0x0
	v_fmac_f64_e32 v[4:5], v[34:35], v[32:33]
	s_and_not1_b32 exec_lo, exec_lo, s21
	s_cbranch_execnz .LBB39_10
; %bb.11:                               ;   in Loop: Header=BB39_8 Depth=1
	s_or_b32 exec_lo, exec_lo, s21
.LBB39_12:                              ;   in Loop: Header=BB39_8 Depth=1
	s_delay_alu instid0(SALU_CYCLE_1) | instskip(NEXT) | instid1(SALU_CYCLE_1)
	s_or_b32 exec_lo, exec_lo, s20
	s_and_b32 vcc_lo, exec_lo, s18
	s_cbranch_vccz .LBB39_19
; %bb.13:                               ;   in Loop: Header=BB39_8 Depth=1
	v_cmp_ne_u32_e32 vcc_lo, 31, v13
	v_add_co_ci_u32_e64 v6, null, 0, v13, vcc_lo
	v_cmp_gt_u32_e32 vcc_lo, 30, v13
	s_delay_alu instid0(VALU_DEP_2)
	v_lshlrev_b32_e32 v7, 2, v6
	v_cndmask_b32_e64 v8, 0, 2, vcc_lo
	v_cmp_gt_u32_e32 vcc_lo, 28, v13
	ds_bpermute_b32 v6, v7, v4
	ds_bpermute_b32 v7, v7, v5
	v_add_lshl_u32 v9, v8, v13, 2
	s_wait_dscnt 0x0
	v_add_f64_e32 v[6:7], v[4:5], v[6:7]
	ds_bpermute_b32 v8, v9, v6
	ds_bpermute_b32 v9, v9, v7
	s_wait_dscnt 0x0
	v_add_f64_e32 v[6:7], v[6:7], v[8:9]
	v_cndmask_b32_e64 v8, 0, 4, vcc_lo
	v_cmp_gt_u32_e32 vcc_lo, 24, v13
	s_delay_alu instid0(VALU_DEP_2)
	v_add_lshl_u32 v9, v8, v13, 2
	ds_bpermute_b32 v8, v9, v6
	ds_bpermute_b32 v9, v9, v7
	s_wait_dscnt 0x0
	v_add_f64_e32 v[6:7], v[6:7], v[8:9]
	v_cndmask_b32_e64 v8, 0, 8, vcc_lo
	s_delay_alu instid0(VALU_DEP_1)
	v_add_lshl_u32 v9, v8, v13, 2
	ds_bpermute_b32 v8, v9, v6
	ds_bpermute_b32 v9, v9, v7
	s_wait_dscnt 0x0
	v_add_f64_e32 v[6:7], v[6:7], v[8:9]
	ds_bpermute_b32 v8, v28, v6
	ds_bpermute_b32 v9, v28, v7
	s_wait_dscnt 0x0
	v_add_f64_e32 v[6:7], v[6:7], v[8:9]
	s_and_saveexec_b32 s16, s3
; %bb.14:                               ;   in Loop: Header=BB39_8 Depth=1
	ds_store_b64 v11, v[6:7] offset:16384
; %bb.15:                               ;   in Loop: Header=BB39_8 Depth=1
	s_or_b32 exec_lo, exec_lo, s16
	s_mov_b32 s17, 0
	s_mov_b32 s16, 0
	s_wait_dscnt 0x0
	s_barrier_signal -1
	s_barrier_wait -1
                                        ; implicit-def: $vgpr8_vgpr9
	s_and_saveexec_b32 s20, s2
	s_delay_alu instid0(SALU_CYCLE_1)
	s_xor_b32 s20, exec_lo, s20
	s_cbranch_execz .LBB39_17
; %bb.16:                               ;   in Loop: Header=BB39_8 Depth=1
	ds_load_2addr_b64 v[32:35], v14 offset1:1
	ds_load_2addr_b64 v[36:39], v15 offset1:1
	s_mov_b32 s16, exec_lo
	s_wait_dscnt 0x1
	v_add_f64_e32 v[6:7], v[6:7], v[32:33]
	s_delay_alu instid0(VALU_DEP_1) | instskip(SKIP_1) | instid1(VALU_DEP_1)
	v_add_f64_e32 v[6:7], v[6:7], v[34:35]
	s_wait_dscnt 0x0
	v_add_f64_e32 v[6:7], v[6:7], v[36:37]
	s_delay_alu instid0(VALU_DEP_1) | instskip(SKIP_4) | instid1(VALU_DEP_1)
	v_add_f64_e32 v[36:37], v[6:7], v[38:39]
	ds_load_2addr_b64 v[6:9], v16 offset1:1
	ds_load_2addr_b64 v[32:35], v17 offset1:1
	s_wait_dscnt 0x1
	v_add_f64_e32 v[6:7], v[36:37], v[6:7]
	v_add_f64_e32 v[6:7], v[6:7], v[8:9]
	s_wait_dscnt 0x0
	s_delay_alu instid0(VALU_DEP_1) | instskip(NEXT) | instid1(VALU_DEP_1)
	v_add_f64_e32 v[6:7], v[6:7], v[32:33]
	v_add_f64_e32 v[36:37], v[6:7], v[34:35]
	ds_load_2addr_b64 v[6:9], v18 offset1:1
	ds_load_2addr_b64 v[32:35], v19 offset1:1
	s_wait_dscnt 0x1
	v_add_f64_e32 v[6:7], v[36:37], v[6:7]
	s_delay_alu instid0(VALU_DEP_1) | instskip(SKIP_1) | instid1(VALU_DEP_1)
	v_add_f64_e32 v[6:7], v[6:7], v[8:9]
	s_wait_dscnt 0x0
	v_add_f64_e32 v[6:7], v[6:7], v[32:33]
	s_delay_alu instid0(VALU_DEP_1) | instskip(SKIP_4) | instid1(VALU_DEP_1)
	v_add_f64_e32 v[36:37], v[6:7], v[34:35]
	ds_load_2addr_b64 v[6:9], v20 offset1:1
	ds_load_2addr_b64 v[32:35], v21 offset1:1
	s_wait_dscnt 0x1
	v_add_f64_e32 v[6:7], v[36:37], v[6:7]
	v_add_f64_e32 v[6:7], v[6:7], v[8:9]
	s_wait_dscnt 0x0
	s_delay_alu instid0(VALU_DEP_1) | instskip(NEXT) | instid1(VALU_DEP_1)
	v_add_f64_e32 v[6:7], v[6:7], v[32:33]
	v_add_f64_e32 v[36:37], v[6:7], v[34:35]
	ds_load_2addr_b64 v[6:9], v22 offset1:1
	ds_load_2addr_b64 v[32:35], v23 offset1:1
	;; [unrolled: 19-line block ×3, first 2 shown]
	s_wait_dscnt 0x1
	v_add_f64_e32 v[6:7], v[36:37], v[6:7]
	s_delay_alu instid0(VALU_DEP_1) | instskip(SKIP_1) | instid1(VALU_DEP_1)
	v_add_f64_e32 v[6:7], v[6:7], v[8:9]
	s_wait_dscnt 0x0
	v_add_f64_e32 v[6:7], v[6:7], v[32:33]
	s_delay_alu instid0(VALU_DEP_1) | instskip(SKIP_4) | instid1(VALU_DEP_1)
	v_add_f64_e32 v[32:33], v[6:7], v[34:35]
	ds_load_2addr_b64 v[6:9], v29 offset1:1
	ds_load_b64 v[34:35], v30 offset:16632
	s_wait_dscnt 0x1
	v_add_f64_e32 v[6:7], v[32:33], v[6:7]
	v_add_f64_e32 v[6:7], v[6:7], v[8:9]
	s_wait_dscnt 0x0
	s_delay_alu instid0(VALU_DEP_1)
	v_add_f64_e32 v[8:9], v[6:7], v[34:35]
.LBB39_17:                              ;   in Loop: Header=BB39_8 Depth=1
	s_or_b32 exec_lo, exec_lo, s20
	s_delay_alu instid0(SALU_CYCLE_1)
	s_and_b32 vcc_lo, exec_lo, s17
	s_cbranch_vccnz .LBB39_20
.LBB39_18:                              ;   in Loop: Header=BB39_8 Depth=1
	s_delay_alu instid0(VALU_DEP_1)
	v_mov_b64_e32 v[4:5], v[8:9]
	s_and_saveexec_b32 s17, s16
	s_cbranch_execnz .LBB39_21
	s_branch .LBB39_22
.LBB39_19:                              ;   in Loop: Header=BB39_8 Depth=1
	s_mov_b32 s16, 0
                                        ; implicit-def: $vgpr8_vgpr9
	s_cbranch_execz .LBB39_18
.LBB39_20:                              ;   in Loop: Header=BB39_8 Depth=1
	s_and_not1_b32 s16, s16, exec_lo
	s_and_b32 s17, s2, exec_lo
	s_delay_alu instid0(SALU_CYCLE_1) | instskip(NEXT) | instid1(SALU_CYCLE_1)
	s_or_b32 s16, s16, s17
	s_and_saveexec_b32 s17, s16
.LBB39_21:                              ;   in Loop: Header=BB39_8 Depth=1
	ds_store_b64 v30, v[4:5] offset:16384
.LBB39_22:                              ;   in Loop: Header=BB39_8 Depth=1
	s_or_b32 exec_lo, exec_lo, s17
	s_wait_dscnt 0x0
	s_barrier_signal -1
	s_barrier_wait -1
	s_and_saveexec_b32 s16, s0
	s_cbranch_execz .LBB39_7
; %bb.23:                               ;   in Loop: Header=BB39_8 Depth=1
	global_load_b64 v[4:5], v30, s[12:13]
	ds_load_b64 v[6:7], v30 offset:16384
	v_mov_b64_e32 v[8:9], v[0:1]
	v_mov_b32_e32 v31, v10
	s_mov_b32 s17, 0
	s_wait_loadcnt_dscnt 0x0
	v_mul_f64_e64 v[4:5], v[6:7], -v[4:5]
	v_mov_b64_e32 v[6:7], v[2:3]
.LBB39_24:                              ;   Parent Loop BB39_8 Depth=1
                                        ; =>  This Inner Loop Header: Depth=2
	flat_load_b64 v[32:33], v[6:7]
	ds_load_b64 v[34:35], v31
	v_add_nc_u64_e32 v[8:9], 0x400, v[8:9]
	v_add_nc_u32_e32 v31, 0x2000, v31
	s_delay_alu instid0(VALU_DEP_2)
	v_cmp_le_i64_e32 vcc_lo, s[6:7], v[8:9]
	s_or_b32 s17, vcc_lo, s17
	s_wait_loadcnt_dscnt 0x0
	v_fmac_f64_e32 v[32:33], v[4:5], v[34:35]
	flat_store_b64 v[6:7], v[32:33]
	s_wait_xcnt 0x0
	v_add_nc_u64_e32 v[6:7], s[14:15], v[6:7]
	s_and_not1_b32 exec_lo, exec_lo, s17
	s_cbranch_execnz .LBB39_24
	s_branch .LBB39_7
.LBB39_25:
	s_endpgm
	.section	.rodata,"a",@progbits
	.p2align	6, 0x0
	.amdhsa_kernel _ZN9rocsolver6v33100L23larf_right_kernel_smallILi1024EdlPKPdEEvT1_S5_T2_lS5_lPKT0_lS6_lS5_l
		.amdhsa_group_segment_fixed_size 16640
		.amdhsa_private_segment_fixed_size 0
		.amdhsa_kernarg_size 96
		.amdhsa_user_sgpr_count 2
		.amdhsa_user_sgpr_dispatch_ptr 0
		.amdhsa_user_sgpr_queue_ptr 0
		.amdhsa_user_sgpr_kernarg_segment_ptr 1
		.amdhsa_user_sgpr_dispatch_id 0
		.amdhsa_user_sgpr_kernarg_preload_length 0
		.amdhsa_user_sgpr_kernarg_preload_offset 0
		.amdhsa_user_sgpr_private_segment_size 0
		.amdhsa_wavefront_size32 1
		.amdhsa_uses_dynamic_stack 0
		.amdhsa_enable_private_segment 0
		.amdhsa_system_sgpr_workgroup_id_x 1
		.amdhsa_system_sgpr_workgroup_id_y 1
		.amdhsa_system_sgpr_workgroup_id_z 0
		.amdhsa_system_sgpr_workgroup_info 0
		.amdhsa_system_vgpr_workitem_id 0
		.amdhsa_next_free_vgpr 40
		.amdhsa_next_free_sgpr 27
		.amdhsa_named_barrier_count 0
		.amdhsa_reserve_vcc 1
		.amdhsa_float_round_mode_32 0
		.amdhsa_float_round_mode_16_64 0
		.amdhsa_float_denorm_mode_32 3
		.amdhsa_float_denorm_mode_16_64 3
		.amdhsa_fp16_overflow 0
		.amdhsa_memory_ordered 1
		.amdhsa_forward_progress 1
		.amdhsa_inst_pref_size 13
		.amdhsa_round_robin_scheduling 0
		.amdhsa_exception_fp_ieee_invalid_op 0
		.amdhsa_exception_fp_denorm_src 0
		.amdhsa_exception_fp_ieee_div_zero 0
		.amdhsa_exception_fp_ieee_overflow 0
		.amdhsa_exception_fp_ieee_underflow 0
		.amdhsa_exception_fp_ieee_inexact 0
		.amdhsa_exception_int_div_zero 0
	.end_amdhsa_kernel
	.section	.text._ZN9rocsolver6v33100L23larf_right_kernel_smallILi1024EdlPKPdEEvT1_S5_T2_lS5_lPKT0_lS6_lS5_l,"axG",@progbits,_ZN9rocsolver6v33100L23larf_right_kernel_smallILi1024EdlPKPdEEvT1_S5_T2_lS5_lPKT0_lS6_lS5_l,comdat
.Lfunc_end39:
	.size	_ZN9rocsolver6v33100L23larf_right_kernel_smallILi1024EdlPKPdEEvT1_S5_T2_lS5_lPKT0_lS6_lS5_l, .Lfunc_end39-_ZN9rocsolver6v33100L23larf_right_kernel_smallILi1024EdlPKPdEEvT1_S5_T2_lS5_lPKT0_lS6_lS5_l
                                        ; -- End function
	.set _ZN9rocsolver6v33100L23larf_right_kernel_smallILi1024EdlPKPdEEvT1_S5_T2_lS5_lPKT0_lS6_lS5_l.num_vgpr, 40
	.set _ZN9rocsolver6v33100L23larf_right_kernel_smallILi1024EdlPKPdEEvT1_S5_T2_lS5_lPKT0_lS6_lS5_l.num_agpr, 0
	.set _ZN9rocsolver6v33100L23larf_right_kernel_smallILi1024EdlPKPdEEvT1_S5_T2_lS5_lPKT0_lS6_lS5_l.numbered_sgpr, 27
	.set _ZN9rocsolver6v33100L23larf_right_kernel_smallILi1024EdlPKPdEEvT1_S5_T2_lS5_lPKT0_lS6_lS5_l.num_named_barrier, 0
	.set _ZN9rocsolver6v33100L23larf_right_kernel_smallILi1024EdlPKPdEEvT1_S5_T2_lS5_lPKT0_lS6_lS5_l.private_seg_size, 0
	.set _ZN9rocsolver6v33100L23larf_right_kernel_smallILi1024EdlPKPdEEvT1_S5_T2_lS5_lPKT0_lS6_lS5_l.uses_vcc, 1
	.set _ZN9rocsolver6v33100L23larf_right_kernel_smallILi1024EdlPKPdEEvT1_S5_T2_lS5_lPKT0_lS6_lS5_l.uses_flat_scratch, 0
	.set _ZN9rocsolver6v33100L23larf_right_kernel_smallILi1024EdlPKPdEEvT1_S5_T2_lS5_lPKT0_lS6_lS5_l.has_dyn_sized_stack, 0
	.set _ZN9rocsolver6v33100L23larf_right_kernel_smallILi1024EdlPKPdEEvT1_S5_T2_lS5_lPKT0_lS6_lS5_l.has_recursion, 0
	.set _ZN9rocsolver6v33100L23larf_right_kernel_smallILi1024EdlPKPdEEvT1_S5_T2_lS5_lPKT0_lS6_lS5_l.has_indirect_call, 0
	.section	.AMDGPU.csdata,"",@progbits
; Kernel info:
; codeLenInByte = 1632
; TotalNumSgprs: 29
; NumVgprs: 40
; ScratchSize: 0
; MemoryBound: 0
; FloatMode: 240
; IeeeMode: 1
; LDSByteSize: 16640 bytes/workgroup (compile time only)
; SGPRBlocks: 0
; VGPRBlocks: 2
; NumSGPRsForWavesPerEU: 29
; NumVGPRsForWavesPerEU: 40
; NamedBarCnt: 0
; Occupancy: 16
; WaveLimiterHint : 1
; COMPUTE_PGM_RSRC2:SCRATCH_EN: 0
; COMPUTE_PGM_RSRC2:USER_SGPR: 2
; COMPUTE_PGM_RSRC2:TRAP_HANDLER: 0
; COMPUTE_PGM_RSRC2:TGID_X_EN: 1
; COMPUTE_PGM_RSRC2:TGID_Y_EN: 1
; COMPUTE_PGM_RSRC2:TGID_Z_EN: 0
; COMPUTE_PGM_RSRC2:TIDIG_COMP_CNT: 0
	.section	.AMDGPU.gpr_maximums,"",@progbits
	.set amdgpu.max_num_vgpr, 0
	.set amdgpu.max_num_agpr, 0
	.set amdgpu.max_num_sgpr, 0
	.section	.AMDGPU.csdata,"",@progbits
	.type	__hip_cuid_bd35b58d383c72c8,@object ; @__hip_cuid_bd35b58d383c72c8
	.section	.bss,"aw",@nobits
	.globl	__hip_cuid_bd35b58d383c72c8
__hip_cuid_bd35b58d383c72c8:
	.byte	0                               ; 0x0
	.size	__hip_cuid_bd35b58d383c72c8, 1

	.ident	"AMD clang version 22.0.0git (https://github.com/RadeonOpenCompute/llvm-project roc-7.2.4 26084 f58b06dce1f9c15707c5f808fd002e18c2accf7e)"
	.section	".note.GNU-stack","",@progbits
	.addrsig
	.addrsig_sym __hip_cuid_bd35b58d383c72c8
	.amdgpu_metadata
---
amdhsa.kernels:
  - .args:
      - .offset:         0
        .size:           4
        .value_kind:     by_value
      - .offset:         4
        .size:           4
        .value_kind:     by_value
      - .address_space:  global
        .offset:         8
        .size:           8
        .value_kind:     global_buffer
      - .offset:         16
        .size:           8
        .value_kind:     by_value
      - .offset:         24
        .size:           4
        .value_kind:     by_value
      - .offset:         32
        .size:           8
        .value_kind:     by_value
      - .address_space:  global
        .offset:         40
        .size:           8
        .value_kind:     global_buffer
      - .offset:         48
        .size:           8
        .value_kind:     by_value
      - .address_space:  global
        .offset:         56
        .size:           8
        .value_kind:     global_buffer
      - .offset:         64
        .size:           8
        .value_kind:     by_value
      - .offset:         72
        .size:           4
        .value_kind:     by_value
      - .offset:         80
        .size:           8
        .value_kind:     by_value
    .group_segment_fixed_size: 16896
    .kernarg_segment_align: 8
    .kernarg_segment_size: 88
    .language:       OpenCL C
    .language_version:
      - 2
      - 0
    .max_flat_workgroup_size: 64
    .name:           _ZN9rocsolver6v33100L22larf_left_kernel_smallILi64EdiPdEEvT1_S3_T2_lS3_lPKT0_lS4_lS3_l
    .private_segment_fixed_size: 0
    .sgpr_count:     28
    .sgpr_spill_count: 0
    .symbol:         _ZN9rocsolver6v33100L22larf_left_kernel_smallILi64EdiPdEEvT1_S3_T2_lS3_lPKT0_lS4_lS3_l.kd
    .uniform_work_group_size: 1
    .uses_dynamic_stack: false
    .vgpr_count:     20
    .vgpr_spill_count: 0
    .wavefront_size: 32
  - .args:
      - .offset:         0
        .size:           4
        .value_kind:     by_value
      - .offset:         4
        .size:           4
        .value_kind:     by_value
      - .address_space:  global
        .offset:         8
        .size:           8
        .value_kind:     global_buffer
      - .offset:         16
        .size:           8
        .value_kind:     by_value
      - .offset:         24
        .size:           4
        .value_kind:     by_value
      - .offset:         32
        .size:           8
        .value_kind:     by_value
      - .address_space:  global
        .offset:         40
        .size:           8
        .value_kind:     global_buffer
      - .offset:         48
        .size:           8
        .value_kind:     by_value
      - .address_space:  global
        .offset:         56
        .size:           8
        .value_kind:     global_buffer
      - .offset:         64
        .size:           8
        .value_kind:     by_value
      - .offset:         72
        .size:           4
        .value_kind:     by_value
      - .offset:         80
        .size:           8
        .value_kind:     by_value
    .group_segment_fixed_size: 17408
    .kernarg_segment_align: 8
    .kernarg_segment_size: 88
    .language:       OpenCL C
    .language_version:
      - 2
      - 0
    .max_flat_workgroup_size: 128
    .name:           _ZN9rocsolver6v33100L22larf_left_kernel_smallILi128EdiPdEEvT1_S3_T2_lS3_lPKT0_lS4_lS3_l
    .private_segment_fixed_size: 0
    .sgpr_count:     28
    .sgpr_spill_count: 0
    .symbol:         _ZN9rocsolver6v33100L22larf_left_kernel_smallILi128EdiPdEEvT1_S3_T2_lS3_lPKT0_lS4_lS3_l.kd
    .uniform_work_group_size: 1
    .uses_dynamic_stack: false
    .vgpr_count:     22
    .vgpr_spill_count: 0
    .wavefront_size: 32
  - .args:
      - .offset:         0
        .size:           4
        .value_kind:     by_value
      - .offset:         4
        .size:           4
        .value_kind:     by_value
      - .address_space:  global
        .offset:         8
        .size:           8
        .value_kind:     global_buffer
      - .offset:         16
        .size:           8
        .value_kind:     by_value
      - .offset:         24
        .size:           4
        .value_kind:     by_value
      - .offset:         32
        .size:           8
        .value_kind:     by_value
      - .address_space:  global
        .offset:         40
        .size:           8
        .value_kind:     global_buffer
      - .offset:         48
        .size:           8
        .value_kind:     by_value
      - .address_space:  global
        .offset:         56
        .size:           8
        .value_kind:     global_buffer
      - .offset:         64
        .size:           8
        .value_kind:     by_value
      - .offset:         72
        .size:           4
        .value_kind:     by_value
      - .offset:         80
        .size:           8
        .value_kind:     by_value
    .group_segment_fixed_size: 18432
    .kernarg_segment_align: 8
    .kernarg_segment_size: 88
    .language:       OpenCL C
    .language_version:
      - 2
      - 0
    .max_flat_workgroup_size: 256
    .name:           _ZN9rocsolver6v33100L22larf_left_kernel_smallILi256EdiPdEEvT1_S3_T2_lS3_lPKT0_lS4_lS3_l
    .private_segment_fixed_size: 0
    .sgpr_count:     28
    .sgpr_spill_count: 0
    .symbol:         _ZN9rocsolver6v33100L22larf_left_kernel_smallILi256EdiPdEEvT1_S3_T2_lS3_lPKT0_lS4_lS3_l.kd
    .uniform_work_group_size: 1
    .uses_dynamic_stack: false
    .vgpr_count:     28
    .vgpr_spill_count: 0
    .wavefront_size: 32
  - .args:
      - .offset:         0
        .size:           4
        .value_kind:     by_value
      - .offset:         4
        .size:           4
        .value_kind:     by_value
      - .address_space:  global
        .offset:         8
        .size:           8
        .value_kind:     global_buffer
      - .offset:         16
        .size:           8
        .value_kind:     by_value
      - .offset:         24
        .size:           4
        .value_kind:     by_value
      - .offset:         32
        .size:           8
        .value_kind:     by_value
      - .address_space:  global
        .offset:         40
        .size:           8
        .value_kind:     global_buffer
      - .offset:         48
        .size:           8
        .value_kind:     by_value
      - .address_space:  global
        .offset:         56
        .size:           8
        .value_kind:     global_buffer
      - .offset:         64
        .size:           8
        .value_kind:     by_value
      - .offset:         72
        .size:           4
        .value_kind:     by_value
      - .offset:         80
        .size:           8
        .value_kind:     by_value
    .group_segment_fixed_size: 20480
    .kernarg_segment_align: 8
    .kernarg_segment_size: 88
    .language:       OpenCL C
    .language_version:
      - 2
      - 0
    .max_flat_workgroup_size: 512
    .name:           _ZN9rocsolver6v33100L22larf_left_kernel_smallILi512EdiPdEEvT1_S3_T2_lS3_lPKT0_lS4_lS3_l
    .private_segment_fixed_size: 0
    .sgpr_count:     28
    .sgpr_spill_count: 0
    .symbol:         _ZN9rocsolver6v33100L22larf_left_kernel_smallILi512EdiPdEEvT1_S3_T2_lS3_lPKT0_lS4_lS3_l.kd
    .uniform_work_group_size: 1
    .uses_dynamic_stack: false
    .vgpr_count:     32
    .vgpr_spill_count: 0
    .wavefront_size: 32
  - .args:
      - .offset:         0
        .size:           4
        .value_kind:     by_value
      - .offset:         4
        .size:           4
        .value_kind:     by_value
      - .address_space:  global
        .offset:         8
        .size:           8
        .value_kind:     global_buffer
      - .offset:         16
        .size:           8
        .value_kind:     by_value
      - .offset:         24
        .size:           4
        .value_kind:     by_value
      - .offset:         32
        .size:           8
        .value_kind:     by_value
      - .address_space:  global
        .offset:         40
        .size:           8
        .value_kind:     global_buffer
      - .offset:         48
        .size:           8
        .value_kind:     by_value
      - .address_space:  global
        .offset:         56
        .size:           8
        .value_kind:     global_buffer
      - .offset:         64
        .size:           8
        .value_kind:     by_value
      - .offset:         72
        .size:           4
        .value_kind:     by_value
      - .offset:         80
        .size:           8
        .value_kind:     by_value
    .group_segment_fixed_size: 24576
    .kernarg_segment_align: 8
    .kernarg_segment_size: 88
    .language:       OpenCL C
    .language_version:
      - 2
      - 0
    .max_flat_workgroup_size: 1024
    .name:           _ZN9rocsolver6v33100L22larf_left_kernel_smallILi1024EdiPdEEvT1_S3_T2_lS3_lPKT0_lS4_lS3_l
    .private_segment_fixed_size: 0
    .sgpr_count:     28
    .sgpr_spill_count: 0
    .symbol:         _ZN9rocsolver6v33100L22larf_left_kernel_smallILi1024EdiPdEEvT1_S3_T2_lS3_lPKT0_lS4_lS3_l.kd
    .uniform_work_group_size: 1
    .uses_dynamic_stack: false
    .vgpr_count:     40
    .vgpr_spill_count: 0
    .wavefront_size: 32
  - .args:
      - .offset:         0
        .size:           4
        .value_kind:     by_value
      - .offset:         4
        .size:           4
        .value_kind:     by_value
      - .address_space:  global
        .offset:         8
        .size:           8
        .value_kind:     global_buffer
      - .offset:         16
        .size:           8
        .value_kind:     by_value
      - .offset:         24
        .size:           4
        .value_kind:     by_value
      - .offset:         32
        .size:           8
        .value_kind:     by_value
      - .address_space:  global
        .offset:         40
        .size:           8
        .value_kind:     global_buffer
      - .offset:         48
        .size:           8
        .value_kind:     by_value
      - .address_space:  global
        .offset:         56
        .size:           8
        .value_kind:     global_buffer
      - .offset:         64
        .size:           8
        .value_kind:     by_value
      - .offset:         72
        .size:           4
        .value_kind:     by_value
      - .offset:         80
        .size:           8
        .value_kind:     by_value
    .group_segment_fixed_size: 16400
    .kernarg_segment_align: 8
    .kernarg_segment_size: 88
    .language:       OpenCL C
    .language_version:
      - 2
      - 0
    .max_flat_workgroup_size: 64
    .name:           _ZN9rocsolver6v33100L23larf_right_kernel_smallILi64EdiPdEEvT1_S3_T2_lS3_lPKT0_lS4_lS3_l
    .private_segment_fixed_size: 0
    .sgpr_count:     28
    .sgpr_spill_count: 0
    .symbol:         _ZN9rocsolver6v33100L23larf_right_kernel_smallILi64EdiPdEEvT1_S3_T2_lS3_lPKT0_lS4_lS3_l.kd
    .uniform_work_group_size: 1
    .uses_dynamic_stack: false
    .vgpr_count:     18
    .vgpr_spill_count: 0
    .wavefront_size: 32
  - .args:
      - .offset:         0
        .size:           4
        .value_kind:     by_value
      - .offset:         4
        .size:           4
        .value_kind:     by_value
      - .address_space:  global
        .offset:         8
        .size:           8
        .value_kind:     global_buffer
      - .offset:         16
        .size:           8
        .value_kind:     by_value
      - .offset:         24
        .size:           4
        .value_kind:     by_value
      - .offset:         32
        .size:           8
        .value_kind:     by_value
      - .address_space:  global
        .offset:         40
        .size:           8
        .value_kind:     global_buffer
      - .offset:         48
        .size:           8
        .value_kind:     by_value
      - .address_space:  global
        .offset:         56
        .size:           8
        .value_kind:     global_buffer
      - .offset:         64
        .size:           8
        .value_kind:     by_value
      - .offset:         72
        .size:           4
        .value_kind:     by_value
      - .offset:         80
        .size:           8
        .value_kind:     by_value
    .group_segment_fixed_size: 16416
    .kernarg_segment_align: 8
    .kernarg_segment_size: 88
    .language:       OpenCL C
    .language_version:
      - 2
      - 0
    .max_flat_workgroup_size: 128
    .name:           _ZN9rocsolver6v33100L23larf_right_kernel_smallILi128EdiPdEEvT1_S3_T2_lS3_lPKT0_lS4_lS3_l
    .private_segment_fixed_size: 0
    .sgpr_count:     28
    .sgpr_spill_count: 0
    .symbol:         _ZN9rocsolver6v33100L23larf_right_kernel_smallILi128EdiPdEEvT1_S3_T2_lS3_lPKT0_lS4_lS3_l.kd
    .uniform_work_group_size: 1
    .uses_dynamic_stack: false
    .vgpr_count:     18
    .vgpr_spill_count: 0
    .wavefront_size: 32
  - .args:
      - .offset:         0
        .size:           4
        .value_kind:     by_value
      - .offset:         4
        .size:           4
        .value_kind:     by_value
      - .address_space:  global
        .offset:         8
        .size:           8
        .value_kind:     global_buffer
      - .offset:         16
        .size:           8
        .value_kind:     by_value
      - .offset:         24
        .size:           4
        .value_kind:     by_value
      - .offset:         32
        .size:           8
        .value_kind:     by_value
      - .address_space:  global
        .offset:         40
        .size:           8
        .value_kind:     global_buffer
      - .offset:         48
        .size:           8
        .value_kind:     by_value
      - .address_space:  global
        .offset:         56
        .size:           8
        .value_kind:     global_buffer
      - .offset:         64
        .size:           8
        .value_kind:     by_value
      - .offset:         72
        .size:           4
        .value_kind:     by_value
      - .offset:         80
        .size:           8
        .value_kind:     by_value
    .group_segment_fixed_size: 16448
    .kernarg_segment_align: 8
    .kernarg_segment_size: 88
    .language:       OpenCL C
    .language_version:
      - 2
      - 0
    .max_flat_workgroup_size: 256
    .name:           _ZN9rocsolver6v33100L23larf_right_kernel_smallILi256EdiPdEEvT1_S3_T2_lS3_lPKT0_lS4_lS3_l
    .private_segment_fixed_size: 0
    .sgpr_count:     28
    .sgpr_spill_count: 0
    .symbol:         _ZN9rocsolver6v33100L23larf_right_kernel_smallILi256EdiPdEEvT1_S3_T2_lS3_lPKT0_lS4_lS3_l.kd
    .uniform_work_group_size: 1
    .uses_dynamic_stack: false
    .vgpr_count:     24
    .vgpr_spill_count: 0
    .wavefront_size: 32
  - .args:
      - .offset:         0
        .size:           4
        .value_kind:     by_value
      - .offset:         4
        .size:           4
        .value_kind:     by_value
      - .address_space:  global
        .offset:         8
        .size:           8
        .value_kind:     global_buffer
      - .offset:         16
        .size:           8
        .value_kind:     by_value
      - .offset:         24
        .size:           4
        .value_kind:     by_value
      - .offset:         32
        .size:           8
        .value_kind:     by_value
      - .address_space:  global
        .offset:         40
        .size:           8
        .value_kind:     global_buffer
      - .offset:         48
        .size:           8
        .value_kind:     by_value
      - .address_space:  global
        .offset:         56
        .size:           8
        .value_kind:     global_buffer
      - .offset:         64
        .size:           8
        .value_kind:     by_value
      - .offset:         72
        .size:           4
        .value_kind:     by_value
      - .offset:         80
        .size:           8
        .value_kind:     by_value
    .group_segment_fixed_size: 16512
    .kernarg_segment_align: 8
    .kernarg_segment_size: 88
    .language:       OpenCL C
    .language_version:
      - 2
      - 0
    .max_flat_workgroup_size: 512
    .name:           _ZN9rocsolver6v33100L23larf_right_kernel_smallILi512EdiPdEEvT1_S3_T2_lS3_lPKT0_lS4_lS3_l
    .private_segment_fixed_size: 0
    .sgpr_count:     28
    .sgpr_spill_count: 0
    .symbol:         _ZN9rocsolver6v33100L23larf_right_kernel_smallILi512EdiPdEEvT1_S3_T2_lS3_lPKT0_lS4_lS3_l.kd
    .uniform_work_group_size: 1
    .uses_dynamic_stack: false
    .vgpr_count:     28
    .vgpr_spill_count: 0
    .wavefront_size: 32
  - .args:
      - .offset:         0
        .size:           4
        .value_kind:     by_value
      - .offset:         4
        .size:           4
        .value_kind:     by_value
      - .address_space:  global
        .offset:         8
        .size:           8
        .value_kind:     global_buffer
      - .offset:         16
        .size:           8
        .value_kind:     by_value
      - .offset:         24
        .size:           4
        .value_kind:     by_value
      - .offset:         32
        .size:           8
        .value_kind:     by_value
      - .address_space:  global
        .offset:         40
        .size:           8
        .value_kind:     global_buffer
      - .offset:         48
        .size:           8
        .value_kind:     by_value
      - .address_space:  global
        .offset:         56
        .size:           8
        .value_kind:     global_buffer
      - .offset:         64
        .size:           8
        .value_kind:     by_value
      - .offset:         72
        .size:           4
        .value_kind:     by_value
      - .offset:         80
        .size:           8
        .value_kind:     by_value
    .group_segment_fixed_size: 16640
    .kernarg_segment_align: 8
    .kernarg_segment_size: 88
    .language:       OpenCL C
    .language_version:
      - 2
      - 0
    .max_flat_workgroup_size: 1024
    .name:           _ZN9rocsolver6v33100L23larf_right_kernel_smallILi1024EdiPdEEvT1_S3_T2_lS3_lPKT0_lS4_lS3_l
    .private_segment_fixed_size: 0
    .sgpr_count:     28
    .sgpr_spill_count: 0
    .symbol:         _ZN9rocsolver6v33100L23larf_right_kernel_smallILi1024EdiPdEEvT1_S3_T2_lS3_lPKT0_lS4_lS3_l.kd
    .uniform_work_group_size: 1
    .uses_dynamic_stack: false
    .vgpr_count:     36
    .vgpr_spill_count: 0
    .wavefront_size: 32
  - .args:
      - .offset:         0
        .size:           4
        .value_kind:     by_value
      - .offset:         4
        .size:           4
        .value_kind:     by_value
      - .address_space:  global
        .offset:         8
        .size:           8
        .value_kind:     global_buffer
      - .offset:         16
        .size:           8
        .value_kind:     by_value
      - .offset:         24
        .size:           4
        .value_kind:     by_value
      - .offset:         32
        .size:           8
        .value_kind:     by_value
      - .address_space:  global
        .offset:         40
        .size:           8
        .value_kind:     global_buffer
      - .offset:         48
        .size:           8
        .value_kind:     by_value
      - .address_space:  global
        .offset:         56
        .size:           8
        .value_kind:     global_buffer
      - .offset:         64
        .size:           8
        .value_kind:     by_value
      - .offset:         72
        .size:           4
        .value_kind:     by_value
      - .offset:         80
        .size:           8
        .value_kind:     by_value
    .group_segment_fixed_size: 16896
    .kernarg_segment_align: 8
    .kernarg_segment_size: 88
    .language:       OpenCL C
    .language_version:
      - 2
      - 0
    .max_flat_workgroup_size: 64
    .name:           _ZN9rocsolver6v33100L22larf_left_kernel_smallILi64EdiPKPdEEvT1_S5_T2_lS5_lPKT0_lS6_lS5_l
    .private_segment_fixed_size: 0
    .sgpr_count:     28
    .sgpr_spill_count: 0
    .symbol:         _ZN9rocsolver6v33100L22larf_left_kernel_smallILi64EdiPKPdEEvT1_S5_T2_lS5_lPKT0_lS6_lS5_l.kd
    .uniform_work_group_size: 1
    .uses_dynamic_stack: false
    .vgpr_count:     20
    .vgpr_spill_count: 0
    .wavefront_size: 32
  - .args:
      - .offset:         0
        .size:           4
        .value_kind:     by_value
      - .offset:         4
        .size:           4
        .value_kind:     by_value
      - .address_space:  global
        .offset:         8
        .size:           8
        .value_kind:     global_buffer
      - .offset:         16
        .size:           8
        .value_kind:     by_value
      - .offset:         24
        .size:           4
        .value_kind:     by_value
      - .offset:         32
        .size:           8
        .value_kind:     by_value
      - .address_space:  global
        .offset:         40
        .size:           8
        .value_kind:     global_buffer
      - .offset:         48
        .size:           8
        .value_kind:     by_value
      - .address_space:  global
        .offset:         56
        .size:           8
        .value_kind:     global_buffer
      - .offset:         64
        .size:           8
        .value_kind:     by_value
      - .offset:         72
        .size:           4
        .value_kind:     by_value
      - .offset:         80
        .size:           8
        .value_kind:     by_value
    .group_segment_fixed_size: 17408
    .kernarg_segment_align: 8
    .kernarg_segment_size: 88
    .language:       OpenCL C
    .language_version:
      - 2
      - 0
    .max_flat_workgroup_size: 128
    .name:           _ZN9rocsolver6v33100L22larf_left_kernel_smallILi128EdiPKPdEEvT1_S5_T2_lS5_lPKT0_lS6_lS5_l
    .private_segment_fixed_size: 0
    .sgpr_count:     28
    .sgpr_spill_count: 0
    .symbol:         _ZN9rocsolver6v33100L22larf_left_kernel_smallILi128EdiPKPdEEvT1_S5_T2_lS5_lPKT0_lS6_lS5_l.kd
    .uniform_work_group_size: 1
    .uses_dynamic_stack: false
    .vgpr_count:     22
    .vgpr_spill_count: 0
    .wavefront_size: 32
  - .args:
      - .offset:         0
        .size:           4
        .value_kind:     by_value
      - .offset:         4
        .size:           4
        .value_kind:     by_value
      - .address_space:  global
        .offset:         8
        .size:           8
        .value_kind:     global_buffer
      - .offset:         16
        .size:           8
        .value_kind:     by_value
      - .offset:         24
        .size:           4
        .value_kind:     by_value
      - .offset:         32
        .size:           8
        .value_kind:     by_value
      - .address_space:  global
        .offset:         40
        .size:           8
        .value_kind:     global_buffer
      - .offset:         48
        .size:           8
        .value_kind:     by_value
      - .address_space:  global
        .offset:         56
        .size:           8
        .value_kind:     global_buffer
      - .offset:         64
        .size:           8
        .value_kind:     by_value
      - .offset:         72
        .size:           4
        .value_kind:     by_value
      - .offset:         80
        .size:           8
        .value_kind:     by_value
    .group_segment_fixed_size: 18432
    .kernarg_segment_align: 8
    .kernarg_segment_size: 88
    .language:       OpenCL C
    .language_version:
      - 2
      - 0
    .max_flat_workgroup_size: 256
    .name:           _ZN9rocsolver6v33100L22larf_left_kernel_smallILi256EdiPKPdEEvT1_S5_T2_lS5_lPKT0_lS6_lS5_l
    .private_segment_fixed_size: 0
    .sgpr_count:     28
    .sgpr_spill_count: 0
    .symbol:         _ZN9rocsolver6v33100L22larf_left_kernel_smallILi256EdiPKPdEEvT1_S5_T2_lS5_lPKT0_lS6_lS5_l.kd
    .uniform_work_group_size: 1
    .uses_dynamic_stack: false
    .vgpr_count:     28
    .vgpr_spill_count: 0
    .wavefront_size: 32
  - .args:
      - .offset:         0
        .size:           4
        .value_kind:     by_value
      - .offset:         4
        .size:           4
        .value_kind:     by_value
      - .address_space:  global
        .offset:         8
        .size:           8
        .value_kind:     global_buffer
      - .offset:         16
        .size:           8
        .value_kind:     by_value
      - .offset:         24
        .size:           4
        .value_kind:     by_value
      - .offset:         32
        .size:           8
        .value_kind:     by_value
      - .address_space:  global
        .offset:         40
        .size:           8
        .value_kind:     global_buffer
      - .offset:         48
        .size:           8
        .value_kind:     by_value
      - .address_space:  global
        .offset:         56
        .size:           8
        .value_kind:     global_buffer
      - .offset:         64
        .size:           8
        .value_kind:     by_value
      - .offset:         72
        .size:           4
        .value_kind:     by_value
      - .offset:         80
        .size:           8
        .value_kind:     by_value
    .group_segment_fixed_size: 20480
    .kernarg_segment_align: 8
    .kernarg_segment_size: 88
    .language:       OpenCL C
    .language_version:
      - 2
      - 0
    .max_flat_workgroup_size: 512
    .name:           _ZN9rocsolver6v33100L22larf_left_kernel_smallILi512EdiPKPdEEvT1_S5_T2_lS5_lPKT0_lS6_lS5_l
    .private_segment_fixed_size: 0
    .sgpr_count:     28
    .sgpr_spill_count: 0
    .symbol:         _ZN9rocsolver6v33100L22larf_left_kernel_smallILi512EdiPKPdEEvT1_S5_T2_lS5_lPKT0_lS6_lS5_l.kd
    .uniform_work_group_size: 1
    .uses_dynamic_stack: false
    .vgpr_count:     32
    .vgpr_spill_count: 0
    .wavefront_size: 32
  - .args:
      - .offset:         0
        .size:           4
        .value_kind:     by_value
      - .offset:         4
        .size:           4
        .value_kind:     by_value
      - .address_space:  global
        .offset:         8
        .size:           8
        .value_kind:     global_buffer
      - .offset:         16
        .size:           8
        .value_kind:     by_value
      - .offset:         24
        .size:           4
        .value_kind:     by_value
      - .offset:         32
        .size:           8
        .value_kind:     by_value
      - .address_space:  global
        .offset:         40
        .size:           8
        .value_kind:     global_buffer
      - .offset:         48
        .size:           8
        .value_kind:     by_value
      - .address_space:  global
        .offset:         56
        .size:           8
        .value_kind:     global_buffer
      - .offset:         64
        .size:           8
        .value_kind:     by_value
      - .offset:         72
        .size:           4
        .value_kind:     by_value
      - .offset:         80
        .size:           8
        .value_kind:     by_value
    .group_segment_fixed_size: 24576
    .kernarg_segment_align: 8
    .kernarg_segment_size: 88
    .language:       OpenCL C
    .language_version:
      - 2
      - 0
    .max_flat_workgroup_size: 1024
    .name:           _ZN9rocsolver6v33100L22larf_left_kernel_smallILi1024EdiPKPdEEvT1_S5_T2_lS5_lPKT0_lS6_lS5_l
    .private_segment_fixed_size: 0
    .sgpr_count:     28
    .sgpr_spill_count: 0
    .symbol:         _ZN9rocsolver6v33100L22larf_left_kernel_smallILi1024EdiPKPdEEvT1_S5_T2_lS5_lPKT0_lS6_lS5_l.kd
    .uniform_work_group_size: 1
    .uses_dynamic_stack: false
    .vgpr_count:     40
    .vgpr_spill_count: 0
    .wavefront_size: 32
  - .args:
      - .offset:         0
        .size:           4
        .value_kind:     by_value
      - .offset:         4
        .size:           4
        .value_kind:     by_value
      - .address_space:  global
        .offset:         8
        .size:           8
        .value_kind:     global_buffer
      - .offset:         16
        .size:           8
        .value_kind:     by_value
      - .offset:         24
        .size:           4
        .value_kind:     by_value
      - .offset:         32
        .size:           8
        .value_kind:     by_value
      - .address_space:  global
        .offset:         40
        .size:           8
        .value_kind:     global_buffer
      - .offset:         48
        .size:           8
        .value_kind:     by_value
      - .address_space:  global
        .offset:         56
        .size:           8
        .value_kind:     global_buffer
      - .offset:         64
        .size:           8
        .value_kind:     by_value
      - .offset:         72
        .size:           4
        .value_kind:     by_value
      - .offset:         80
        .size:           8
        .value_kind:     by_value
    .group_segment_fixed_size: 16400
    .kernarg_segment_align: 8
    .kernarg_segment_size: 88
    .language:       OpenCL C
    .language_version:
      - 2
      - 0
    .max_flat_workgroup_size: 64
    .name:           _ZN9rocsolver6v33100L23larf_right_kernel_smallILi64EdiPKPdEEvT1_S5_T2_lS5_lPKT0_lS6_lS5_l
    .private_segment_fixed_size: 0
    .sgpr_count:     30
    .sgpr_spill_count: 0
    .symbol:         _ZN9rocsolver6v33100L23larf_right_kernel_smallILi64EdiPKPdEEvT1_S5_T2_lS5_lPKT0_lS6_lS5_l.kd
    .uniform_work_group_size: 1
    .uses_dynamic_stack: false
    .vgpr_count:     18
    .vgpr_spill_count: 0
    .wavefront_size: 32
  - .args:
      - .offset:         0
        .size:           4
        .value_kind:     by_value
      - .offset:         4
        .size:           4
        .value_kind:     by_value
      - .address_space:  global
        .offset:         8
        .size:           8
        .value_kind:     global_buffer
      - .offset:         16
        .size:           8
        .value_kind:     by_value
      - .offset:         24
        .size:           4
        .value_kind:     by_value
      - .offset:         32
        .size:           8
        .value_kind:     by_value
      - .address_space:  global
        .offset:         40
        .size:           8
        .value_kind:     global_buffer
      - .offset:         48
        .size:           8
        .value_kind:     by_value
      - .address_space:  global
        .offset:         56
        .size:           8
        .value_kind:     global_buffer
      - .offset:         64
        .size:           8
        .value_kind:     by_value
      - .offset:         72
        .size:           4
        .value_kind:     by_value
      - .offset:         80
        .size:           8
        .value_kind:     by_value
    .group_segment_fixed_size: 16416
    .kernarg_segment_align: 8
    .kernarg_segment_size: 88
    .language:       OpenCL C
    .language_version:
      - 2
      - 0
    .max_flat_workgroup_size: 128
    .name:           _ZN9rocsolver6v33100L23larf_right_kernel_smallILi128EdiPKPdEEvT1_S5_T2_lS5_lPKT0_lS6_lS5_l
    .private_segment_fixed_size: 0
    .sgpr_count:     30
    .sgpr_spill_count: 0
    .symbol:         _ZN9rocsolver6v33100L23larf_right_kernel_smallILi128EdiPKPdEEvT1_S5_T2_lS5_lPKT0_lS6_lS5_l.kd
    .uniform_work_group_size: 1
    .uses_dynamic_stack: false
    .vgpr_count:     18
    .vgpr_spill_count: 0
    .wavefront_size: 32
  - .args:
      - .offset:         0
        .size:           4
        .value_kind:     by_value
      - .offset:         4
        .size:           4
        .value_kind:     by_value
      - .address_space:  global
        .offset:         8
        .size:           8
        .value_kind:     global_buffer
      - .offset:         16
        .size:           8
        .value_kind:     by_value
      - .offset:         24
        .size:           4
        .value_kind:     by_value
      - .offset:         32
        .size:           8
        .value_kind:     by_value
      - .address_space:  global
        .offset:         40
        .size:           8
        .value_kind:     global_buffer
      - .offset:         48
        .size:           8
        .value_kind:     by_value
      - .address_space:  global
        .offset:         56
        .size:           8
        .value_kind:     global_buffer
      - .offset:         64
        .size:           8
        .value_kind:     by_value
      - .offset:         72
        .size:           4
        .value_kind:     by_value
      - .offset:         80
        .size:           8
        .value_kind:     by_value
    .group_segment_fixed_size: 16448
    .kernarg_segment_align: 8
    .kernarg_segment_size: 88
    .language:       OpenCL C
    .language_version:
      - 2
      - 0
    .max_flat_workgroup_size: 256
    .name:           _ZN9rocsolver6v33100L23larf_right_kernel_smallILi256EdiPKPdEEvT1_S5_T2_lS5_lPKT0_lS6_lS5_l
    .private_segment_fixed_size: 0
    .sgpr_count:     30
    .sgpr_spill_count: 0
    .symbol:         _ZN9rocsolver6v33100L23larf_right_kernel_smallILi256EdiPKPdEEvT1_S5_T2_lS5_lPKT0_lS6_lS5_l.kd
    .uniform_work_group_size: 1
    .uses_dynamic_stack: false
    .vgpr_count:     24
    .vgpr_spill_count: 0
    .wavefront_size: 32
  - .args:
      - .offset:         0
        .size:           4
        .value_kind:     by_value
      - .offset:         4
        .size:           4
        .value_kind:     by_value
      - .address_space:  global
        .offset:         8
        .size:           8
        .value_kind:     global_buffer
      - .offset:         16
        .size:           8
        .value_kind:     by_value
      - .offset:         24
        .size:           4
        .value_kind:     by_value
      - .offset:         32
        .size:           8
        .value_kind:     by_value
      - .address_space:  global
        .offset:         40
        .size:           8
        .value_kind:     global_buffer
      - .offset:         48
        .size:           8
        .value_kind:     by_value
      - .address_space:  global
        .offset:         56
        .size:           8
        .value_kind:     global_buffer
      - .offset:         64
        .size:           8
        .value_kind:     by_value
      - .offset:         72
        .size:           4
        .value_kind:     by_value
      - .offset:         80
        .size:           8
        .value_kind:     by_value
    .group_segment_fixed_size: 16512
    .kernarg_segment_align: 8
    .kernarg_segment_size: 88
    .language:       OpenCL C
    .language_version:
      - 2
      - 0
    .max_flat_workgroup_size: 512
    .name:           _ZN9rocsolver6v33100L23larf_right_kernel_smallILi512EdiPKPdEEvT1_S5_T2_lS5_lPKT0_lS6_lS5_l
    .private_segment_fixed_size: 0
    .sgpr_count:     30
    .sgpr_spill_count: 0
    .symbol:         _ZN9rocsolver6v33100L23larf_right_kernel_smallILi512EdiPKPdEEvT1_S5_T2_lS5_lPKT0_lS6_lS5_l.kd
    .uniform_work_group_size: 1
    .uses_dynamic_stack: false
    .vgpr_count:     28
    .vgpr_spill_count: 0
    .wavefront_size: 32
  - .args:
      - .offset:         0
        .size:           4
        .value_kind:     by_value
      - .offset:         4
        .size:           4
        .value_kind:     by_value
      - .address_space:  global
        .offset:         8
        .size:           8
        .value_kind:     global_buffer
      - .offset:         16
        .size:           8
        .value_kind:     by_value
      - .offset:         24
        .size:           4
        .value_kind:     by_value
      - .offset:         32
        .size:           8
        .value_kind:     by_value
      - .address_space:  global
        .offset:         40
        .size:           8
        .value_kind:     global_buffer
      - .offset:         48
        .size:           8
        .value_kind:     by_value
      - .address_space:  global
        .offset:         56
        .size:           8
        .value_kind:     global_buffer
      - .offset:         64
        .size:           8
        .value_kind:     by_value
      - .offset:         72
        .size:           4
        .value_kind:     by_value
      - .offset:         80
        .size:           8
        .value_kind:     by_value
    .group_segment_fixed_size: 16640
    .kernarg_segment_align: 8
    .kernarg_segment_size: 88
    .language:       OpenCL C
    .language_version:
      - 2
      - 0
    .max_flat_workgroup_size: 1024
    .name:           _ZN9rocsolver6v33100L23larf_right_kernel_smallILi1024EdiPKPdEEvT1_S5_T2_lS5_lPKT0_lS6_lS5_l
    .private_segment_fixed_size: 0
    .sgpr_count:     30
    .sgpr_spill_count: 0
    .symbol:         _ZN9rocsolver6v33100L23larf_right_kernel_smallILi1024EdiPKPdEEvT1_S5_T2_lS5_lPKT0_lS6_lS5_l.kd
    .uniform_work_group_size: 1
    .uses_dynamic_stack: false
    .vgpr_count:     36
    .vgpr_spill_count: 0
    .wavefront_size: 32
  - .args:
      - .offset:         0
        .size:           8
        .value_kind:     by_value
      - .offset:         8
        .size:           8
        .value_kind:     by_value
      - .address_space:  global
        .offset:         16
        .size:           8
        .value_kind:     global_buffer
      - .offset:         24
        .size:           8
        .value_kind:     by_value
      - .offset:         32
        .size:           8
        .value_kind:     by_value
      - .offset:         40
        .size:           8
        .value_kind:     by_value
      - .address_space:  global
        .offset:         48
        .size:           8
        .value_kind:     global_buffer
      - .offset:         56
        .size:           8
        .value_kind:     by_value
      - .address_space:  global
        .offset:         64
        .size:           8
        .value_kind:     global_buffer
      - .offset:         72
        .size:           8
        .value_kind:     by_value
      - .offset:         80
        .size:           8
        .value_kind:     by_value
      - .offset:         88
        .size:           8
        .value_kind:     by_value
    .group_segment_fixed_size: 16896
    .kernarg_segment_align: 8
    .kernarg_segment_size: 96
    .language:       OpenCL C
    .language_version:
      - 2
      - 0
    .max_flat_workgroup_size: 64
    .name:           _ZN9rocsolver6v33100L22larf_left_kernel_smallILi64EdlPdEEvT1_S3_T2_lS3_lPKT0_lS4_lS3_l
    .private_segment_fixed_size: 0
    .sgpr_count:     28
    .sgpr_spill_count: 0
    .symbol:         _ZN9rocsolver6v33100L22larf_left_kernel_smallILi64EdlPdEEvT1_S3_T2_lS3_lPKT0_lS4_lS3_l.kd
    .uniform_work_group_size: 1
    .uses_dynamic_stack: false
    .vgpr_count:     20
    .vgpr_spill_count: 0
    .wavefront_size: 32
  - .args:
      - .offset:         0
        .size:           8
        .value_kind:     by_value
      - .offset:         8
        .size:           8
        .value_kind:     by_value
      - .address_space:  global
        .offset:         16
        .size:           8
        .value_kind:     global_buffer
      - .offset:         24
        .size:           8
        .value_kind:     by_value
      - .offset:         32
        .size:           8
        .value_kind:     by_value
      - .offset:         40
        .size:           8
        .value_kind:     by_value
      - .address_space:  global
        .offset:         48
        .size:           8
        .value_kind:     global_buffer
      - .offset:         56
        .size:           8
        .value_kind:     by_value
      - .address_space:  global
        .offset:         64
        .size:           8
        .value_kind:     global_buffer
      - .offset:         72
        .size:           8
        .value_kind:     by_value
      - .offset:         80
        .size:           8
        .value_kind:     by_value
      - .offset:         88
        .size:           8
        .value_kind:     by_value
    .group_segment_fixed_size: 17408
    .kernarg_segment_align: 8
    .kernarg_segment_size: 96
    .language:       OpenCL C
    .language_version:
      - 2
      - 0
    .max_flat_workgroup_size: 128
    .name:           _ZN9rocsolver6v33100L22larf_left_kernel_smallILi128EdlPdEEvT1_S3_T2_lS3_lPKT0_lS4_lS3_l
    .private_segment_fixed_size: 0
    .sgpr_count:     28
    .sgpr_spill_count: 0
    .symbol:         _ZN9rocsolver6v33100L22larf_left_kernel_smallILi128EdlPdEEvT1_S3_T2_lS3_lPKT0_lS4_lS3_l.kd
    .uniform_work_group_size: 1
    .uses_dynamic_stack: false
    .vgpr_count:     22
    .vgpr_spill_count: 0
    .wavefront_size: 32
  - .args:
      - .offset:         0
        .size:           8
        .value_kind:     by_value
      - .offset:         8
        .size:           8
        .value_kind:     by_value
      - .address_space:  global
        .offset:         16
        .size:           8
        .value_kind:     global_buffer
      - .offset:         24
        .size:           8
        .value_kind:     by_value
      - .offset:         32
        .size:           8
        .value_kind:     by_value
      - .offset:         40
        .size:           8
        .value_kind:     by_value
      - .address_space:  global
        .offset:         48
        .size:           8
        .value_kind:     global_buffer
      - .offset:         56
        .size:           8
        .value_kind:     by_value
      - .address_space:  global
        .offset:         64
        .size:           8
        .value_kind:     global_buffer
      - .offset:         72
        .size:           8
        .value_kind:     by_value
      - .offset:         80
        .size:           8
        .value_kind:     by_value
      - .offset:         88
        .size:           8
        .value_kind:     by_value
    .group_segment_fixed_size: 18432
    .kernarg_segment_align: 8
    .kernarg_segment_size: 96
    .language:       OpenCL C
    .language_version:
      - 2
      - 0
    .max_flat_workgroup_size: 256
    .name:           _ZN9rocsolver6v33100L22larf_left_kernel_smallILi256EdlPdEEvT1_S3_T2_lS3_lPKT0_lS4_lS3_l
    .private_segment_fixed_size: 0
    .sgpr_count:     28
    .sgpr_spill_count: 0
    .symbol:         _ZN9rocsolver6v33100L22larf_left_kernel_smallILi256EdlPdEEvT1_S3_T2_lS3_lPKT0_lS4_lS3_l.kd
    .uniform_work_group_size: 1
    .uses_dynamic_stack: false
    .vgpr_count:     26
    .vgpr_spill_count: 0
    .wavefront_size: 32
  - .args:
      - .offset:         0
        .size:           8
        .value_kind:     by_value
      - .offset:         8
        .size:           8
        .value_kind:     by_value
      - .address_space:  global
        .offset:         16
        .size:           8
        .value_kind:     global_buffer
      - .offset:         24
        .size:           8
        .value_kind:     by_value
      - .offset:         32
        .size:           8
        .value_kind:     by_value
      - .offset:         40
        .size:           8
        .value_kind:     by_value
      - .address_space:  global
        .offset:         48
        .size:           8
        .value_kind:     global_buffer
      - .offset:         56
        .size:           8
        .value_kind:     by_value
      - .address_space:  global
        .offset:         64
        .size:           8
        .value_kind:     global_buffer
      - .offset:         72
        .size:           8
        .value_kind:     by_value
      - .offset:         80
        .size:           8
        .value_kind:     by_value
      - .offset:         88
        .size:           8
        .value_kind:     by_value
    .group_segment_fixed_size: 20480
    .kernarg_segment_align: 8
    .kernarg_segment_size: 96
    .language:       OpenCL C
    .language_version:
      - 2
      - 0
    .max_flat_workgroup_size: 512
    .name:           _ZN9rocsolver6v33100L22larf_left_kernel_smallILi512EdlPdEEvT1_S3_T2_lS3_lPKT0_lS4_lS3_l
    .private_segment_fixed_size: 0
    .sgpr_count:     28
    .sgpr_spill_count: 0
    .symbol:         _ZN9rocsolver6v33100L22larf_left_kernel_smallILi512EdlPdEEvT1_S3_T2_lS3_lPKT0_lS4_lS3_l.kd
    .uniform_work_group_size: 1
    .uses_dynamic_stack: false
    .vgpr_count:     30
    .vgpr_spill_count: 0
    .wavefront_size: 32
  - .args:
      - .offset:         0
        .size:           8
        .value_kind:     by_value
      - .offset:         8
        .size:           8
        .value_kind:     by_value
      - .address_space:  global
        .offset:         16
        .size:           8
        .value_kind:     global_buffer
      - .offset:         24
        .size:           8
        .value_kind:     by_value
      - .offset:         32
        .size:           8
        .value_kind:     by_value
      - .offset:         40
        .size:           8
        .value_kind:     by_value
      - .address_space:  global
        .offset:         48
        .size:           8
        .value_kind:     global_buffer
      - .offset:         56
        .size:           8
        .value_kind:     by_value
      - .address_space:  global
        .offset:         64
        .size:           8
        .value_kind:     global_buffer
      - .offset:         72
        .size:           8
        .value_kind:     by_value
      - .offset:         80
        .size:           8
        .value_kind:     by_value
      - .offset:         88
        .size:           8
        .value_kind:     by_value
    .group_segment_fixed_size: 24576
    .kernarg_segment_align: 8
    .kernarg_segment_size: 96
    .language:       OpenCL C
    .language_version:
      - 2
      - 0
    .max_flat_workgroup_size: 1024
    .name:           _ZN9rocsolver6v33100L22larf_left_kernel_smallILi1024EdlPdEEvT1_S3_T2_lS3_lPKT0_lS4_lS3_l
    .private_segment_fixed_size: 0
    .sgpr_count:     28
    .sgpr_spill_count: 0
    .symbol:         _ZN9rocsolver6v33100L22larf_left_kernel_smallILi1024EdlPdEEvT1_S3_T2_lS3_lPKT0_lS4_lS3_l.kd
    .uniform_work_group_size: 1
    .uses_dynamic_stack: false
    .vgpr_count:     38
    .vgpr_spill_count: 0
    .wavefront_size: 32
  - .args:
      - .offset:         0
        .size:           8
        .value_kind:     by_value
      - .offset:         8
        .size:           8
        .value_kind:     by_value
      - .address_space:  global
        .offset:         16
        .size:           8
        .value_kind:     global_buffer
      - .offset:         24
        .size:           8
        .value_kind:     by_value
      - .offset:         32
        .size:           8
        .value_kind:     by_value
      - .offset:         40
        .size:           8
        .value_kind:     by_value
      - .address_space:  global
        .offset:         48
        .size:           8
        .value_kind:     global_buffer
      - .offset:         56
        .size:           8
        .value_kind:     by_value
      - .address_space:  global
        .offset:         64
        .size:           8
        .value_kind:     global_buffer
      - .offset:         72
        .size:           8
        .value_kind:     by_value
      - .offset:         80
        .size:           8
        .value_kind:     by_value
      - .offset:         88
        .size:           8
        .value_kind:     by_value
    .group_segment_fixed_size: 16400
    .kernarg_segment_align: 8
    .kernarg_segment_size: 96
    .language:       OpenCL C
    .language_version:
      - 2
      - 0
    .max_flat_workgroup_size: 64
    .name:           _ZN9rocsolver6v33100L23larf_right_kernel_smallILi64EdlPdEEvT1_S3_T2_lS3_lPKT0_lS4_lS3_l
    .private_segment_fixed_size: 0
    .sgpr_count:     28
    .sgpr_spill_count: 0
    .symbol:         _ZN9rocsolver6v33100L23larf_right_kernel_smallILi64EdlPdEEvT1_S3_T2_lS3_lPKT0_lS4_lS3_l.kd
    .uniform_work_group_size: 1
    .uses_dynamic_stack: false
    .vgpr_count:     22
    .vgpr_spill_count: 0
    .wavefront_size: 32
  - .args:
      - .offset:         0
        .size:           8
        .value_kind:     by_value
      - .offset:         8
        .size:           8
        .value_kind:     by_value
      - .address_space:  global
        .offset:         16
        .size:           8
        .value_kind:     global_buffer
      - .offset:         24
        .size:           8
        .value_kind:     by_value
      - .offset:         32
        .size:           8
        .value_kind:     by_value
      - .offset:         40
        .size:           8
        .value_kind:     by_value
      - .address_space:  global
        .offset:         48
        .size:           8
        .value_kind:     global_buffer
      - .offset:         56
        .size:           8
        .value_kind:     by_value
      - .address_space:  global
        .offset:         64
        .size:           8
        .value_kind:     global_buffer
      - .offset:         72
        .size:           8
        .value_kind:     by_value
      - .offset:         80
        .size:           8
        .value_kind:     by_value
      - .offset:         88
        .size:           8
        .value_kind:     by_value
    .group_segment_fixed_size: 16416
    .kernarg_segment_align: 8
    .kernarg_segment_size: 96
    .language:       OpenCL C
    .language_version:
      - 2
      - 0
    .max_flat_workgroup_size: 128
    .name:           _ZN9rocsolver6v33100L23larf_right_kernel_smallILi128EdlPdEEvT1_S3_T2_lS3_lPKT0_lS4_lS3_l
    .private_segment_fixed_size: 0
    .sgpr_count:     28
    .sgpr_spill_count: 0
    .symbol:         _ZN9rocsolver6v33100L23larf_right_kernel_smallILi128EdlPdEEvT1_S3_T2_lS3_lPKT0_lS4_lS3_l.kd
    .uniform_work_group_size: 1
    .uses_dynamic_stack: false
    .vgpr_count:     22
    .vgpr_spill_count: 0
    .wavefront_size: 32
  - .args:
      - .offset:         0
        .size:           8
        .value_kind:     by_value
      - .offset:         8
        .size:           8
        .value_kind:     by_value
      - .address_space:  global
        .offset:         16
        .size:           8
        .value_kind:     global_buffer
      - .offset:         24
        .size:           8
        .value_kind:     by_value
      - .offset:         32
        .size:           8
        .value_kind:     by_value
      - .offset:         40
        .size:           8
        .value_kind:     by_value
      - .address_space:  global
        .offset:         48
        .size:           8
        .value_kind:     global_buffer
      - .offset:         56
        .size:           8
        .value_kind:     by_value
      - .address_space:  global
        .offset:         64
        .size:           8
        .value_kind:     global_buffer
      - .offset:         72
        .size:           8
        .value_kind:     by_value
      - .offset:         80
        .size:           8
        .value_kind:     by_value
      - .offset:         88
        .size:           8
        .value_kind:     by_value
    .group_segment_fixed_size: 16448
    .kernarg_segment_align: 8
    .kernarg_segment_size: 96
    .language:       OpenCL C
    .language_version:
      - 2
      - 0
    .max_flat_workgroup_size: 256
    .name:           _ZN9rocsolver6v33100L23larf_right_kernel_smallILi256EdlPdEEvT1_S3_T2_lS3_lPKT0_lS4_lS3_l
    .private_segment_fixed_size: 0
    .sgpr_count:     28
    .sgpr_spill_count: 0
    .symbol:         _ZN9rocsolver6v33100L23larf_right_kernel_smallILi256EdlPdEEvT1_S3_T2_lS3_lPKT0_lS4_lS3_l.kd
    .uniform_work_group_size: 1
    .uses_dynamic_stack: false
    .vgpr_count:     28
    .vgpr_spill_count: 0
    .wavefront_size: 32
  - .args:
      - .offset:         0
        .size:           8
        .value_kind:     by_value
      - .offset:         8
        .size:           8
        .value_kind:     by_value
      - .address_space:  global
        .offset:         16
        .size:           8
        .value_kind:     global_buffer
      - .offset:         24
        .size:           8
        .value_kind:     by_value
      - .offset:         32
        .size:           8
        .value_kind:     by_value
      - .offset:         40
        .size:           8
        .value_kind:     by_value
      - .address_space:  global
        .offset:         48
        .size:           8
        .value_kind:     global_buffer
      - .offset:         56
        .size:           8
        .value_kind:     by_value
      - .address_space:  global
        .offset:         64
        .size:           8
        .value_kind:     global_buffer
      - .offset:         72
        .size:           8
        .value_kind:     by_value
      - .offset:         80
        .size:           8
        .value_kind:     by_value
      - .offset:         88
        .size:           8
        .value_kind:     by_value
    .group_segment_fixed_size: 16512
    .kernarg_segment_align: 8
    .kernarg_segment_size: 96
    .language:       OpenCL C
    .language_version:
      - 2
      - 0
    .max_flat_workgroup_size: 512
    .name:           _ZN9rocsolver6v33100L23larf_right_kernel_smallILi512EdlPdEEvT1_S3_T2_lS3_lPKT0_lS4_lS3_l
    .private_segment_fixed_size: 0
    .sgpr_count:     28
    .sgpr_spill_count: 0
    .symbol:         _ZN9rocsolver6v33100L23larf_right_kernel_smallILi512EdlPdEEvT1_S3_T2_lS3_lPKT0_lS4_lS3_l.kd
    .uniform_work_group_size: 1
    .uses_dynamic_stack: false
    .vgpr_count:     32
    .vgpr_spill_count: 0
    .wavefront_size: 32
  - .args:
      - .offset:         0
        .size:           8
        .value_kind:     by_value
      - .offset:         8
        .size:           8
        .value_kind:     by_value
      - .address_space:  global
        .offset:         16
        .size:           8
        .value_kind:     global_buffer
      - .offset:         24
        .size:           8
        .value_kind:     by_value
      - .offset:         32
        .size:           8
        .value_kind:     by_value
      - .offset:         40
        .size:           8
        .value_kind:     by_value
      - .address_space:  global
        .offset:         48
        .size:           8
        .value_kind:     global_buffer
      - .offset:         56
        .size:           8
        .value_kind:     by_value
      - .address_space:  global
        .offset:         64
        .size:           8
        .value_kind:     global_buffer
      - .offset:         72
        .size:           8
        .value_kind:     by_value
      - .offset:         80
        .size:           8
        .value_kind:     by_value
      - .offset:         88
        .size:           8
        .value_kind:     by_value
    .group_segment_fixed_size: 16640
    .kernarg_segment_align: 8
    .kernarg_segment_size: 96
    .language:       OpenCL C
    .language_version:
      - 2
      - 0
    .max_flat_workgroup_size: 1024
    .name:           _ZN9rocsolver6v33100L23larf_right_kernel_smallILi1024EdlPdEEvT1_S3_T2_lS3_lPKT0_lS4_lS3_l
    .private_segment_fixed_size: 0
    .sgpr_count:     28
    .sgpr_spill_count: 0
    .symbol:         _ZN9rocsolver6v33100L23larf_right_kernel_smallILi1024EdlPdEEvT1_S3_T2_lS3_lPKT0_lS4_lS3_l.kd
    .uniform_work_group_size: 1
    .uses_dynamic_stack: false
    .vgpr_count:     40
    .vgpr_spill_count: 0
    .wavefront_size: 32
  - .args:
      - .offset:         0
        .size:           8
        .value_kind:     by_value
      - .offset:         8
        .size:           8
        .value_kind:     by_value
      - .address_space:  global
        .offset:         16
        .size:           8
        .value_kind:     global_buffer
      - .offset:         24
        .size:           8
        .value_kind:     by_value
      - .offset:         32
        .size:           8
        .value_kind:     by_value
      - .offset:         40
        .size:           8
        .value_kind:     by_value
      - .address_space:  global
        .offset:         48
        .size:           8
        .value_kind:     global_buffer
      - .offset:         56
        .size:           8
        .value_kind:     by_value
      - .address_space:  global
        .offset:         64
        .size:           8
        .value_kind:     global_buffer
      - .offset:         72
        .size:           8
        .value_kind:     by_value
      - .offset:         80
        .size:           8
        .value_kind:     by_value
      - .offset:         88
        .size:           8
        .value_kind:     by_value
    .group_segment_fixed_size: 16896
    .kernarg_segment_align: 8
    .kernarg_segment_size: 96
    .language:       OpenCL C
    .language_version:
      - 2
      - 0
    .max_flat_workgroup_size: 64
    .name:           _ZN9rocsolver6v33100L22larf_left_kernel_smallILi64EdlPKPdEEvT1_S5_T2_lS5_lPKT0_lS6_lS5_l
    .private_segment_fixed_size: 0
    .sgpr_count:     29
    .sgpr_spill_count: 0
    .symbol:         _ZN9rocsolver6v33100L22larf_left_kernel_smallILi64EdlPKPdEEvT1_S5_T2_lS5_lPKT0_lS6_lS5_l.kd
    .uniform_work_group_size: 1
    .uses_dynamic_stack: false
    .vgpr_count:     20
    .vgpr_spill_count: 0
    .wavefront_size: 32
  - .args:
      - .offset:         0
        .size:           8
        .value_kind:     by_value
      - .offset:         8
        .size:           8
        .value_kind:     by_value
      - .address_space:  global
        .offset:         16
        .size:           8
        .value_kind:     global_buffer
      - .offset:         24
        .size:           8
        .value_kind:     by_value
      - .offset:         32
        .size:           8
        .value_kind:     by_value
      - .offset:         40
        .size:           8
        .value_kind:     by_value
      - .address_space:  global
        .offset:         48
        .size:           8
        .value_kind:     global_buffer
      - .offset:         56
        .size:           8
        .value_kind:     by_value
      - .address_space:  global
        .offset:         64
        .size:           8
        .value_kind:     global_buffer
      - .offset:         72
        .size:           8
        .value_kind:     by_value
      - .offset:         80
        .size:           8
        .value_kind:     by_value
      - .offset:         88
        .size:           8
        .value_kind:     by_value
    .group_segment_fixed_size: 17408
    .kernarg_segment_align: 8
    .kernarg_segment_size: 96
    .language:       OpenCL C
    .language_version:
      - 2
      - 0
    .max_flat_workgroup_size: 128
    .name:           _ZN9rocsolver6v33100L22larf_left_kernel_smallILi128EdlPKPdEEvT1_S5_T2_lS5_lPKT0_lS6_lS5_l
    .private_segment_fixed_size: 0
    .sgpr_count:     29
    .sgpr_spill_count: 0
    .symbol:         _ZN9rocsolver6v33100L22larf_left_kernel_smallILi128EdlPKPdEEvT1_S5_T2_lS5_lPKT0_lS6_lS5_l.kd
    .uniform_work_group_size: 1
    .uses_dynamic_stack: false
    .vgpr_count:     22
    .vgpr_spill_count: 0
    .wavefront_size: 32
  - .args:
      - .offset:         0
        .size:           8
        .value_kind:     by_value
      - .offset:         8
        .size:           8
        .value_kind:     by_value
      - .address_space:  global
        .offset:         16
        .size:           8
        .value_kind:     global_buffer
      - .offset:         24
        .size:           8
        .value_kind:     by_value
      - .offset:         32
        .size:           8
        .value_kind:     by_value
      - .offset:         40
        .size:           8
        .value_kind:     by_value
      - .address_space:  global
        .offset:         48
        .size:           8
        .value_kind:     global_buffer
      - .offset:         56
        .size:           8
        .value_kind:     by_value
      - .address_space:  global
        .offset:         64
        .size:           8
        .value_kind:     global_buffer
      - .offset:         72
        .size:           8
        .value_kind:     by_value
      - .offset:         80
        .size:           8
        .value_kind:     by_value
      - .offset:         88
        .size:           8
        .value_kind:     by_value
    .group_segment_fixed_size: 18432
    .kernarg_segment_align: 8
    .kernarg_segment_size: 96
    .language:       OpenCL C
    .language_version:
      - 2
      - 0
    .max_flat_workgroup_size: 256
    .name:           _ZN9rocsolver6v33100L22larf_left_kernel_smallILi256EdlPKPdEEvT1_S5_T2_lS5_lPKT0_lS6_lS5_l
    .private_segment_fixed_size: 0
    .sgpr_count:     29
    .sgpr_spill_count: 0
    .symbol:         _ZN9rocsolver6v33100L22larf_left_kernel_smallILi256EdlPKPdEEvT1_S5_T2_lS5_lPKT0_lS6_lS5_l.kd
    .uniform_work_group_size: 1
    .uses_dynamic_stack: false
    .vgpr_count:     26
    .vgpr_spill_count: 0
    .wavefront_size: 32
  - .args:
      - .offset:         0
        .size:           8
        .value_kind:     by_value
      - .offset:         8
        .size:           8
        .value_kind:     by_value
      - .address_space:  global
        .offset:         16
        .size:           8
        .value_kind:     global_buffer
      - .offset:         24
        .size:           8
        .value_kind:     by_value
      - .offset:         32
        .size:           8
        .value_kind:     by_value
      - .offset:         40
        .size:           8
        .value_kind:     by_value
      - .address_space:  global
        .offset:         48
        .size:           8
        .value_kind:     global_buffer
      - .offset:         56
        .size:           8
        .value_kind:     by_value
      - .address_space:  global
        .offset:         64
        .size:           8
        .value_kind:     global_buffer
      - .offset:         72
        .size:           8
        .value_kind:     by_value
      - .offset:         80
        .size:           8
        .value_kind:     by_value
      - .offset:         88
        .size:           8
        .value_kind:     by_value
    .group_segment_fixed_size: 20480
    .kernarg_segment_align: 8
    .kernarg_segment_size: 96
    .language:       OpenCL C
    .language_version:
      - 2
      - 0
    .max_flat_workgroup_size: 512
    .name:           _ZN9rocsolver6v33100L22larf_left_kernel_smallILi512EdlPKPdEEvT1_S5_T2_lS5_lPKT0_lS6_lS5_l
    .private_segment_fixed_size: 0
    .sgpr_count:     29
    .sgpr_spill_count: 0
    .symbol:         _ZN9rocsolver6v33100L22larf_left_kernel_smallILi512EdlPKPdEEvT1_S5_T2_lS5_lPKT0_lS6_lS5_l.kd
    .uniform_work_group_size: 1
    .uses_dynamic_stack: false
    .vgpr_count:     30
    .vgpr_spill_count: 0
    .wavefront_size: 32
  - .args:
      - .offset:         0
        .size:           8
        .value_kind:     by_value
      - .offset:         8
        .size:           8
        .value_kind:     by_value
      - .address_space:  global
        .offset:         16
        .size:           8
        .value_kind:     global_buffer
      - .offset:         24
        .size:           8
        .value_kind:     by_value
      - .offset:         32
        .size:           8
        .value_kind:     by_value
      - .offset:         40
        .size:           8
        .value_kind:     by_value
      - .address_space:  global
        .offset:         48
        .size:           8
        .value_kind:     global_buffer
      - .offset:         56
        .size:           8
        .value_kind:     by_value
      - .address_space:  global
        .offset:         64
        .size:           8
        .value_kind:     global_buffer
      - .offset:         72
        .size:           8
        .value_kind:     by_value
      - .offset:         80
        .size:           8
        .value_kind:     by_value
      - .offset:         88
        .size:           8
        .value_kind:     by_value
    .group_segment_fixed_size: 24576
    .kernarg_segment_align: 8
    .kernarg_segment_size: 96
    .language:       OpenCL C
    .language_version:
      - 2
      - 0
    .max_flat_workgroup_size: 1024
    .name:           _ZN9rocsolver6v33100L22larf_left_kernel_smallILi1024EdlPKPdEEvT1_S5_T2_lS5_lPKT0_lS6_lS5_l
    .private_segment_fixed_size: 0
    .sgpr_count:     29
    .sgpr_spill_count: 0
    .symbol:         _ZN9rocsolver6v33100L22larf_left_kernel_smallILi1024EdlPKPdEEvT1_S5_T2_lS5_lPKT0_lS6_lS5_l.kd
    .uniform_work_group_size: 1
    .uses_dynamic_stack: false
    .vgpr_count:     38
    .vgpr_spill_count: 0
    .wavefront_size: 32
  - .args:
      - .offset:         0
        .size:           8
        .value_kind:     by_value
      - .offset:         8
        .size:           8
        .value_kind:     by_value
      - .address_space:  global
        .offset:         16
        .size:           8
        .value_kind:     global_buffer
      - .offset:         24
        .size:           8
        .value_kind:     by_value
      - .offset:         32
        .size:           8
        .value_kind:     by_value
      - .offset:         40
        .size:           8
        .value_kind:     by_value
      - .address_space:  global
        .offset:         48
        .size:           8
        .value_kind:     global_buffer
      - .offset:         56
        .size:           8
        .value_kind:     by_value
      - .address_space:  global
        .offset:         64
        .size:           8
        .value_kind:     global_buffer
      - .offset:         72
        .size:           8
        .value_kind:     by_value
      - .offset:         80
        .size:           8
        .value_kind:     by_value
      - .offset:         88
        .size:           8
        .value_kind:     by_value
    .group_segment_fixed_size: 16400
    .kernarg_segment_align: 8
    .kernarg_segment_size: 96
    .language:       OpenCL C
    .language_version:
      - 2
      - 0
    .max_flat_workgroup_size: 64
    .name:           _ZN9rocsolver6v33100L23larf_right_kernel_smallILi64EdlPKPdEEvT1_S5_T2_lS5_lPKT0_lS6_lS5_l
    .private_segment_fixed_size: 0
    .sgpr_count:     29
    .sgpr_spill_count: 0
    .symbol:         _ZN9rocsolver6v33100L23larf_right_kernel_smallILi64EdlPKPdEEvT1_S5_T2_lS5_lPKT0_lS6_lS5_l.kd
    .uniform_work_group_size: 1
    .uses_dynamic_stack: false
    .vgpr_count:     22
    .vgpr_spill_count: 0
    .wavefront_size: 32
  - .args:
      - .offset:         0
        .size:           8
        .value_kind:     by_value
      - .offset:         8
        .size:           8
        .value_kind:     by_value
      - .address_space:  global
        .offset:         16
        .size:           8
        .value_kind:     global_buffer
      - .offset:         24
        .size:           8
        .value_kind:     by_value
      - .offset:         32
        .size:           8
        .value_kind:     by_value
      - .offset:         40
        .size:           8
        .value_kind:     by_value
      - .address_space:  global
        .offset:         48
        .size:           8
        .value_kind:     global_buffer
      - .offset:         56
        .size:           8
        .value_kind:     by_value
      - .address_space:  global
        .offset:         64
        .size:           8
        .value_kind:     global_buffer
      - .offset:         72
        .size:           8
        .value_kind:     by_value
      - .offset:         80
        .size:           8
        .value_kind:     by_value
      - .offset:         88
        .size:           8
        .value_kind:     by_value
    .group_segment_fixed_size: 16416
    .kernarg_segment_align: 8
    .kernarg_segment_size: 96
    .language:       OpenCL C
    .language_version:
      - 2
      - 0
    .max_flat_workgroup_size: 128
    .name:           _ZN9rocsolver6v33100L23larf_right_kernel_smallILi128EdlPKPdEEvT1_S5_T2_lS5_lPKT0_lS6_lS5_l
    .private_segment_fixed_size: 0
    .sgpr_count:     29
    .sgpr_spill_count: 0
    .symbol:         _ZN9rocsolver6v33100L23larf_right_kernel_smallILi128EdlPKPdEEvT1_S5_T2_lS5_lPKT0_lS6_lS5_l.kd
    .uniform_work_group_size: 1
    .uses_dynamic_stack: false
    .vgpr_count:     22
    .vgpr_spill_count: 0
    .wavefront_size: 32
  - .args:
      - .offset:         0
        .size:           8
        .value_kind:     by_value
      - .offset:         8
        .size:           8
        .value_kind:     by_value
      - .address_space:  global
        .offset:         16
        .size:           8
        .value_kind:     global_buffer
      - .offset:         24
        .size:           8
        .value_kind:     by_value
      - .offset:         32
        .size:           8
        .value_kind:     by_value
      - .offset:         40
        .size:           8
        .value_kind:     by_value
      - .address_space:  global
        .offset:         48
        .size:           8
        .value_kind:     global_buffer
      - .offset:         56
        .size:           8
        .value_kind:     by_value
      - .address_space:  global
        .offset:         64
        .size:           8
        .value_kind:     global_buffer
      - .offset:         72
        .size:           8
        .value_kind:     by_value
      - .offset:         80
        .size:           8
        .value_kind:     by_value
      - .offset:         88
        .size:           8
        .value_kind:     by_value
    .group_segment_fixed_size: 16448
    .kernarg_segment_align: 8
    .kernarg_segment_size: 96
    .language:       OpenCL C
    .language_version:
      - 2
      - 0
    .max_flat_workgroup_size: 256
    .name:           _ZN9rocsolver6v33100L23larf_right_kernel_smallILi256EdlPKPdEEvT1_S5_T2_lS5_lPKT0_lS6_lS5_l
    .private_segment_fixed_size: 0
    .sgpr_count:     29
    .sgpr_spill_count: 0
    .symbol:         _ZN9rocsolver6v33100L23larf_right_kernel_smallILi256EdlPKPdEEvT1_S5_T2_lS5_lPKT0_lS6_lS5_l.kd
    .uniform_work_group_size: 1
    .uses_dynamic_stack: false
    .vgpr_count:     28
    .vgpr_spill_count: 0
    .wavefront_size: 32
  - .args:
      - .offset:         0
        .size:           8
        .value_kind:     by_value
      - .offset:         8
        .size:           8
        .value_kind:     by_value
      - .address_space:  global
        .offset:         16
        .size:           8
        .value_kind:     global_buffer
      - .offset:         24
        .size:           8
        .value_kind:     by_value
      - .offset:         32
        .size:           8
        .value_kind:     by_value
      - .offset:         40
        .size:           8
        .value_kind:     by_value
      - .address_space:  global
        .offset:         48
        .size:           8
        .value_kind:     global_buffer
      - .offset:         56
        .size:           8
        .value_kind:     by_value
      - .address_space:  global
        .offset:         64
        .size:           8
        .value_kind:     global_buffer
      - .offset:         72
        .size:           8
        .value_kind:     by_value
      - .offset:         80
        .size:           8
        .value_kind:     by_value
      - .offset:         88
        .size:           8
        .value_kind:     by_value
    .group_segment_fixed_size: 16512
    .kernarg_segment_align: 8
    .kernarg_segment_size: 96
    .language:       OpenCL C
    .language_version:
      - 2
      - 0
    .max_flat_workgroup_size: 512
    .name:           _ZN9rocsolver6v33100L23larf_right_kernel_smallILi512EdlPKPdEEvT1_S5_T2_lS5_lPKT0_lS6_lS5_l
    .private_segment_fixed_size: 0
    .sgpr_count:     29
    .sgpr_spill_count: 0
    .symbol:         _ZN9rocsolver6v33100L23larf_right_kernel_smallILi512EdlPKPdEEvT1_S5_T2_lS5_lPKT0_lS6_lS5_l.kd
    .uniform_work_group_size: 1
    .uses_dynamic_stack: false
    .vgpr_count:     32
    .vgpr_spill_count: 0
    .wavefront_size: 32
  - .args:
      - .offset:         0
        .size:           8
        .value_kind:     by_value
      - .offset:         8
        .size:           8
        .value_kind:     by_value
      - .address_space:  global
        .offset:         16
        .size:           8
        .value_kind:     global_buffer
      - .offset:         24
        .size:           8
        .value_kind:     by_value
      - .offset:         32
        .size:           8
        .value_kind:     by_value
      - .offset:         40
        .size:           8
        .value_kind:     by_value
      - .address_space:  global
        .offset:         48
        .size:           8
        .value_kind:     global_buffer
      - .offset:         56
        .size:           8
        .value_kind:     by_value
      - .address_space:  global
        .offset:         64
        .size:           8
        .value_kind:     global_buffer
      - .offset:         72
        .size:           8
        .value_kind:     by_value
      - .offset:         80
        .size:           8
        .value_kind:     by_value
      - .offset:         88
        .size:           8
        .value_kind:     by_value
    .group_segment_fixed_size: 16640
    .kernarg_segment_align: 8
    .kernarg_segment_size: 96
    .language:       OpenCL C
    .language_version:
      - 2
      - 0
    .max_flat_workgroup_size: 1024
    .name:           _ZN9rocsolver6v33100L23larf_right_kernel_smallILi1024EdlPKPdEEvT1_S5_T2_lS5_lPKT0_lS6_lS5_l
    .private_segment_fixed_size: 0
    .sgpr_count:     29
    .sgpr_spill_count: 0
    .symbol:         _ZN9rocsolver6v33100L23larf_right_kernel_smallILi1024EdlPKPdEEvT1_S5_T2_lS5_lPKT0_lS6_lS5_l.kd
    .uniform_work_group_size: 1
    .uses_dynamic_stack: false
    .vgpr_count:     40
    .vgpr_spill_count: 0
    .wavefront_size: 32
amdhsa.target:   amdgcn-amd-amdhsa--gfx1250
amdhsa.version:
  - 1
  - 2
...

	.end_amdgpu_metadata
